;; amdgpu-corpus repo=ROCm/rocFFT kind=compiled arch=gfx906 opt=O3
	.text
	.amdgcn_target "amdgcn-amd-amdhsa--gfx906"
	.amdhsa_code_object_version 6
	.protected	bluestein_single_back_len1920_dim1_dp_op_CI_CI ; -- Begin function bluestein_single_back_len1920_dim1_dp_op_CI_CI
	.globl	bluestein_single_back_len1920_dim1_dp_op_CI_CI
	.p2align	8
	.type	bluestein_single_back_len1920_dim1_dp_op_CI_CI,@function
bluestein_single_back_len1920_dim1_dp_op_CI_CI: ; @bluestein_single_back_len1920_dim1_dp_op_CI_CI
; %bb.0:
	s_load_dwordx4 s[8:11], s[4:5], 0x28
	v_mul_u32_u24_e32 v1, 0x223, v0
	s_mov_b64 s[26:27], s[2:3]
	v_lshrrev_b32_e32 v10, 16, v1
	s_mov_b64 s[24:25], s[0:1]
	v_lshl_add_u32 v4, s6, 1, v10
	v_mov_b32_e32 v5, 0
	s_add_u32 s24, s24, s7
	s_waitcnt lgkmcnt(0)
	v_cmp_gt_u64_e32 vcc, s[8:9], v[4:5]
	s_addc_u32 s25, s25, 0
	s_and_saveexec_b64 s[0:1], vcc
	s_cbranch_execz .LBB0_23
; %bb.1:
	s_load_dwordx4 s[12:15], s[4:5], 0x18
	v_mul_lo_u16_e32 v1, 0x78, v10
	v_sub_u16_e32 v35, v0, v1
	v_mov_b32_e32 v5, v4
	v_lshlrev_b32_e32 v33, 4, v35
	s_waitcnt lgkmcnt(0)
	s_load_dwordx4 s[0:3], s[12:13], 0x0
	buffer_store_dword v5, off, s[24:27], 0 offset:4 ; 4-byte Folded Spill
	s_nop 0
	buffer_store_dword v6, off, s[24:27], 0 offset:8 ; 4-byte Folded Spill
	s_load_dwordx2 s[12:13], s[4:5], 0x0
	v_or_b32_e32 v8, 0x180, v35
	v_or_b32_e32 v34, 0x600, v35
	s_waitcnt lgkmcnt(0)
	v_mad_u64_u32 v[0:1], s[6:7], s2, v4, 0
	v_mad_u64_u32 v[2:3], s[6:7], s0, v35, 0
	;; [unrolled: 1-line block ×4, first 2 shown]
	v_mov_b32_e32 v1, v4
	v_lshlrev_b64 v[0:1], 4, v[0:1]
	v_mov_b32_e32 v6, s11
	v_mov_b32_e32 v3, v5
	v_add_co_u32_e32 v15, vcc, s10, v0
	v_addc_co_u32_e32 v32, vcc, v6, v1, vcc
	v_lshlrev_b64 v[0:1], 4, v[2:3]
	s_mul_i32 s2, s1, 0xc0
	v_add_co_u32_e32 v0, vcc, v15, v0
	v_addc_co_u32_e32 v1, vcc, v32, v1, vcc
	s_mul_hi_u32 s3, s0, 0xc0
	v_mov_b32_e32 v2, s13
	v_add_co_u32_e32 v16, vcc, s12, v33
	s_add_i32 s3, s3, s2
	s_mul_i32 s2, s0, 0xc0
	v_addc_co_u32_e32 v17, vcc, 0, v2, vcc
	s_lshl_b64 s[2:3], s[2:3], 4
	v_mov_b32_e32 v5, s3
	v_add_co_u32_e32 v4, vcc, s2, v0
	v_addc_co_u32_e32 v5, vcc, v1, v5, vcc
	global_load_dwordx4 v[11:14], v[0:1], off
	global_load_dwordx4 v[18:21], v[4:5], off
	global_load_dwordx4 v[102:105], v33, s[12:13]
	global_load_dwordx4 v[86:89], v33, s[12:13] offset:3072
	v_mad_u64_u32 v[2:3], s[6:7], s0, v8, 0
	buffer_store_dword v8, off, s[24:27], 0 offset:12 ; 4-byte Folded Spill
	s_movk_i32 s10, 0x2000
	v_mad_u64_u32 v[6:7], s[6:7], s1, v8, v[3:4]
	s_mul_i32 s6, s1, 0x1800
	s_mul_hi_u32 s7, s0, 0x1800
	v_mov_b32_e32 v3, v6
	v_lshlrev_b64 v[0:1], 4, v[2:3]
	s_add_i32 s6, s7, s6
	v_add_co_u32_e32 v0, vcc, v15, v0
	v_addc_co_u32_e32 v1, vcc, v32, v1, vcc
	global_load_dwordx4 v[22:25], v[0:1], off
	v_lshlrev_b32_e32 v0, 4, v8
	v_or_b32_e32 v8, 0x300, v35
	v_mad_u64_u32 v[2:3], s[8:9], s0, v8, 0
	s_mul_i32 s7, s0, 0x1800
	buffer_store_dword v0, off, s[24:27], 0 offset:192 ; 4-byte Folded Spill
	global_load_dwordx4 v[66:69], v0, s[12:13]
	v_mov_b32_e32 v0, s6
	v_add_co_u32_e32 v4, vcc, s7, v4
	v_addc_co_u32_e32 v5, vcc, v5, v0, vcc
	v_mov_b32_e32 v0, v3
	v_mad_u64_u32 v[6:7], s[8:9], s1, v8, v[0:1]
	v_add_co_u32_e32 v0, vcc, s10, v16
	v_mov_b32_e32 v3, v6
	v_lshlrev_b64 v[2:3], 4, v[2:3]
	v_addc_co_u32_e32 v1, vcc, 0, v17, vcc
	v_add_co_u32_e32 v2, vcc, v15, v2
	v_addc_co_u32_e32 v3, vcc, v32, v3, vcc
	global_load_dwordx4 v[26:29], v[4:5], off
	global_load_dwordx4 v[36:39], v[2:3], off
	v_lshlrev_b32_e32 v2, 4, v8
	buffer_store_dword v8, off, s[24:27], 0 offset:16 ; 4-byte Folded Spill
	v_or_b32_e32 v8, 0x480, v35
	global_load_dwordx4 v[90:93], v[0:1], off offset:1024
	global_load_dwordx4 v[70:73], v2, s[12:13]
	v_add_co_u32_e32 v6, vcc, s7, v4
	buffer_store_dword v2, off, s[24:27], 0 offset:196 ; 4-byte Folded Spill
	v_mad_u64_u32 v[2:3], s[8:9], s0, v8, 0
	v_mov_b32_e32 v7, s6
	v_addc_co_u32_e32 v7, vcc, v5, v7, vcc
	v_mad_u64_u32 v[3:4], s[8:9], s1, v8, v[3:4]
	s_movk_i32 s10, 0x3000
	v_add_co_u32_e32 v4, vcc, s10, v16
	v_lshlrev_b64 v[2:3], 4, v[2:3]
	v_addc_co_u32_e32 v5, vcc, 0, v17, vcc
	v_add_co_u32_e32 v2, vcc, v15, v2
	v_addc_co_u32_e32 v3, vcc, v32, v3, vcc
	global_load_dwordx4 v[40:43], v[6:7], off
	global_load_dwordx4 v[44:47], v[2:3], off
	v_lshlrev_b32_e32 v2, 4, v8
	buffer_store_dword v8, off, s[24:27], 0 offset:20 ; 4-byte Folded Spill
	v_mad_u64_u32 v[8:9], s[8:9], s0, v34, 0
	global_load_dwordx4 v[94:97], v[4:5], off offset:3072
	global_load_dwordx4 v[78:81], v2, s[12:13]
	v_add_co_u32_e32 v6, vcc, s7, v6
	buffer_store_dword v2, off, s[24:27], 0 offset:200 ; 4-byte Folded Spill
	v_mov_b32_e32 v2, s6
	v_addc_co_u32_e32 v7, vcc, v7, v2, vcc
	v_mov_b32_e32 v2, v9
	v_mad_u64_u32 v[30:31], s[8:9], s1, v34, v[2:3]
	s_movk_i32 s10, 0x5000
	v_add_co_u32_e32 v2, vcc, s10, v16
	v_mov_b32_e32 v9, v30
	v_lshlrev_b64 v[8:9], 4, v[8:9]
	v_addc_co_u32_e32 v3, vcc, 0, v17, vcc
	s_waitcnt vmcnt(17)
	v_mul_f64 v[30:31], v[13:14], v[104:105]
	v_add_co_u32_e32 v8, vcc, v15, v8
	v_addc_co_u32_e32 v9, vcc, v32, v9, vcc
	global_load_dwordx4 v[48:51], v[6:7], off
	global_load_dwordx4 v[52:55], v[8:9], off
	v_lshlrev_b32_e32 v8, 4, v34
	global_load_dwordx4 v[98:101], v[2:3], off offset:1024
	global_load_dwordx4 v[74:77], v8, s[12:13]
	v_mov_b32_e32 v9, s6
	buffer_store_dword v8, off, s[24:27], 0 offset:188 ; 4-byte Folded Spill
	v_add_co_u32_e32 v8, vcc, s7, v6
	v_addc_co_u32_e32 v9, vcc, v7, v9, vcc
	s_movk_i32 s6, 0x6000
	v_add_co_u32_e32 v6, vcc, s6, v16
	buffer_store_dword v34, off, s[24:27], 0 offset:24 ; 4-byte Folded Spill
	v_addc_co_u32_e32 v7, vcc, 0, v17, vcc
	global_load_dwordx4 v[56:59], v[8:9], off
	global_load_dwordx4 v[82:85], v[6:7], off offset:3072
	v_mul_f64 v[60:61], v[11:12], v[104:105]
	s_waitcnt vmcnt(24)
	v_mul_f64 v[62:63], v[20:21], v[88:89]
	s_load_dwordx2 s[6:7], s[4:5], 0x38
	s_load_dwordx4 s[8:11], s[14:15], 0x0
	v_and_b32_e32 v15, 1, v10
	v_fma_f64 v[10:11], v[11:12], v[102:103], v[30:31]
	buffer_store_dword v102, off, s[24:27], 0 offset:172 ; 4-byte Folded Spill
	s_nop 0
	buffer_store_dword v103, off, s[24:27], 0 offset:176 ; 4-byte Folded Spill
	buffer_store_dword v104, off, s[24:27], 0 offset:180 ; 4-byte Folded Spill
	;; [unrolled: 1-line block ×3, first 2 shown]
	v_mul_f64 v[64:65], v[18:19], v[88:89]
	v_cmp_eq_u32_e32 vcc, 1, v15
	s_movk_i32 s14, 0x48
	v_fma_f64 v[18:19], v[18:19], v[86:87], v[62:63]
	buffer_store_dword v86, off, s[24:27], 0 offset:108 ; 4-byte Folded Spill
	s_nop 0
	buffer_store_dword v87, off, s[24:27], 0 offset:112 ; 4-byte Folded Spill
	buffer_store_dword v88, off, s[24:27], 0 offset:116 ; 4-byte Folded Spill
	buffer_store_dword v89, off, s[24:27], 0 offset:120 ; 4-byte Folded Spill
	s_waitcnt vmcnt(23)
	v_mul_f64 v[30:31], v[38:39], v[72:73]
	s_waitcnt vmcnt(18)
	v_mul_f64 v[62:63], v[42:43], v[96:97]
	v_fma_f64 v[12:13], v[13:14], v[102:103], -v[60:61]
	v_mov_b32_e32 v14, 0x780
	v_cndmask_b32_e32 v175, 0, v14, vcc
	v_or_b32_e32 v14, v175, v35
	v_lshlrev_b32_e32 v14, 4, v14
	v_fma_f64 v[20:21], v[20:21], v[86:87], -v[64:65]
	buffer_store_dword v14, off, s[24:27], 0 ; 4-byte Folded Spill
	v_lshl_add_u32 v34, v175, 4, v33
	ds_write_b128 v14, v[10:13]
	v_mul_f64 v[10:11], v[24:25], v[68:69]
	v_mul_f64 v[14:15], v[28:29], v[92:93]
	;; [unrolled: 1-line block ×4, first 2 shown]
	ds_write_b128 v34, v[18:21] offset:3072
	v_mul_f64 v[20:21], v[26:27], v[92:93]
	v_mul_f64 v[64:65], v[40:41], v[96:97]
	v_cmp_gt_u16_e32 vcc, s14, v35
	v_fma_f64 v[10:11], v[22:23], v[66:67], v[10:11]
	buffer_store_dword v66, off, s[24:27], 0 offset:28 ; 4-byte Folded Spill
	s_nop 0
	buffer_store_dword v67, off, s[24:27], 0 offset:32 ; 4-byte Folded Spill
	buffer_store_dword v68, off, s[24:27], 0 offset:36 ; 4-byte Folded Spill
	buffer_store_dword v69, off, s[24:27], 0 offset:40 ; 4-byte Folded Spill
	v_fma_f64 v[18:19], v[26:27], v[90:91], v[14:15]
	buffer_store_dword v90, off, s[24:27], 0 offset:124 ; 4-byte Folded Spill
	s_nop 0
	buffer_store_dword v91, off, s[24:27], 0 offset:128 ; 4-byte Folded Spill
	buffer_store_dword v92, off, s[24:27], 0 offset:132 ; 4-byte Folded Spill
	buffer_store_dword v93, off, s[24:27], 0 offset:136 ; 4-byte Folded Spill
	;; [unrolled: 6-line block ×4, first 2 shown]
	s_waitcnt vmcnt(34)
	v_mul_f64 v[14:15], v[46:47], v[80:81]
	s_waitcnt vmcnt(30)
	v_mul_f64 v[40:41], v[50:51], v[100:101]
	v_mul_f64 v[30:31], v[44:45], v[80:81]
	s_waitcnt vmcnt(29)
	v_mul_f64 v[62:63], v[52:53], v[76:77]
	v_fma_f64 v[36:37], v[44:45], v[78:79], v[14:15]
	buffer_store_dword v78, off, s[24:27], 0 offset:76 ; 4-byte Folded Spill
	s_nop 0
	buffer_store_dword v79, off, s[24:27], 0 offset:80 ; 4-byte Folded Spill
	buffer_store_dword v80, off, s[24:27], 0 offset:84 ; 4-byte Folded Spill
	;; [unrolled: 1-line block ×3, first 2 shown]
	v_fma_f64 v[40:41], v[48:49], v[98:99], v[40:41]
	v_fma_f64 v[12:13], v[24:25], v[66:67], -v[12:13]
	s_waitcnt vmcnt(29)
	v_mul_f64 v[66:67], v[56:57], v[84:85]
	v_fma_f64 v[20:21], v[28:29], v[90:91], -v[20:21]
	v_fma_f64 v[24:25], v[38:39], v[70:71], -v[60:61]
	v_mul_f64 v[60:61], v[54:55], v[76:77]
	v_fma_f64 v[28:29], v[42:43], v[94:95], -v[64:65]
	v_mul_f64 v[64:65], v[58:59], v[84:85]
	v_mul_f64 v[42:43], v[48:49], v[100:101]
	buffer_store_dword v98, off, s[24:27], 0 offset:156 ; 4-byte Folded Spill
	s_nop 0
	buffer_store_dword v99, off, s[24:27], 0 offset:160 ; 4-byte Folded Spill
	buffer_store_dword v100, off, s[24:27], 0 offset:164 ; 4-byte Folded Spill
	;; [unrolled: 1-line block ×3, first 2 shown]
	v_fma_f64 v[44:45], v[52:53], v[74:75], v[60:61]
	buffer_store_dword v74, off, s[24:27], 0 offset:60 ; 4-byte Folded Spill
	s_nop 0
	buffer_store_dword v75, off, s[24:27], 0 offset:64 ; 4-byte Folded Spill
	buffer_store_dword v76, off, s[24:27], 0 offset:68 ; 4-byte Folded Spill
	;; [unrolled: 1-line block ×3, first 2 shown]
	v_fma_f64 v[48:49], v[56:57], v[82:83], v[64:65]
	buffer_store_dword v82, off, s[24:27], 0 offset:92 ; 4-byte Folded Spill
	s_nop 0
	buffer_store_dword v83, off, s[24:27], 0 offset:96 ; 4-byte Folded Spill
	buffer_store_dword v84, off, s[24:27], 0 offset:100 ; 4-byte Folded Spill
	;; [unrolled: 1-line block ×3, first 2 shown]
	v_fma_f64 v[38:39], v[46:47], v[78:79], -v[30:31]
	v_fma_f64 v[42:43], v[50:51], v[98:99], -v[42:43]
	;; [unrolled: 1-line block ×4, first 2 shown]
	ds_write_b128 v34, v[10:13] offset:6144
	ds_write_b128 v34, v[18:21] offset:9216
	;; [unrolled: 1-line block ×8, first 2 shown]
	s_and_saveexec_b64 s[14:15], vcc
	s_cbranch_execz .LBB0_3
; %bb.2:
	v_mov_b32_e32 v10, 0xffff9b80
	v_mad_u64_u32 v[12:13], s[16:17], s0, v10, v[8:9]
	s_mulk_i32 s1, 0x9b80
	s_sub_i32 s0, s1, s0
	v_add_u32_e32 v13, s0, v13
	v_mov_b32_e32 v32, s3
	v_add_co_u32_e64 v18, s[0:1], s2, v12
	v_addc_co_u32_e64 v19, s[0:1], v13, v32, s[0:1]
	s_movk_i32 s0, 0x1000
	v_add_co_u32_e64 v30, s[0:1], s0, v16
	v_addc_co_u32_e64 v31, s[0:1], 0, v17, s[0:1]
	v_add_co_u32_e64 v36, s[0:1], s2, v18
	v_addc_co_u32_e64 v37, s[0:1], v19, v32, s[0:1]
	global_load_dwordx4 v[8:11], v[12:13], off
	s_nop 0
	global_load_dwordx4 v[12:15], v[18:19], off
	s_nop 0
	global_load_dwordx4 v[18:21], v[36:37], off
	global_load_dwordx4 v[22:25], v[30:31], off offset:896
	global_load_dwordx4 v[26:29], v[30:31], off offset:3968
	v_add_co_u32_e64 v30, s[0:1], s2, v36
	v_addc_co_u32_e64 v31, s[0:1], v37, v32, s[0:1]
	global_load_dwordx4 v[36:39], v[30:31], off
	global_load_dwordx4 v[40:43], v[16:17], off offset:1920
	global_load_dwordx4 v[44:47], v[0:1], off offset:2944
	v_add_co_u32_e64 v0, s[0:1], s2, v30
	v_addc_co_u32_e64 v1, s[0:1], v31, v32, s[0:1]
	global_load_dwordx4 v[48:51], v[0:1], off
	global_load_dwordx4 v[52:55], v[4:5], off offset:1920
	v_add_co_u32_e64 v0, s[0:1], s2, v0
	v_addc_co_u32_e64 v1, s[0:1], v1, v32, s[0:1]
	s_movk_i32 s0, 0x4000
	v_add_co_u32_e64 v4, s[0:1], s0, v16
	v_addc_co_u32_e64 v5, s[0:1], 0, v17, s[0:1]
	global_load_dwordx4 v[56:59], v[0:1], off
	v_add_co_u32_e64 v0, s[0:1], s2, v0
	v_addc_co_u32_e64 v1, s[0:1], v1, v32, s[0:1]
	global_load_dwordx4 v[60:63], v[0:1], off
	global_load_dwordx4 v[64:67], v[4:5], off offset:896
	global_load_dwordx4 v[68:71], v[4:5], off offset:3968
	v_add_co_u32_e64 v0, s[0:1], s2, v0
	v_addc_co_u32_e64 v1, s[0:1], v1, v32, s[0:1]
	v_add_co_u32_e64 v30, s[0:1], s2, v0
	v_addc_co_u32_e64 v31, s[0:1], v1, v32, s[0:1]
	global_load_dwordx4 v[72:75], v[0:1], off
	global_load_dwordx4 v[76:79], v[2:3], off offset:2944
	s_nop 0
	global_load_dwordx4 v[0:3], v[30:31], off
	s_nop 0
	global_load_dwordx4 v[4:7], v[6:7], off offset:1920
	v_add_co_u32_e64 v30, s[0:1], s2, v30
	v_addc_co_u32_e64 v31, s[0:1], v31, v32, s[0:1]
	s_movk_i32 s0, 0x7000
	v_add_co_u32_e64 v80, s[0:1], s0, v16
	v_addc_co_u32_e64 v81, s[0:1], 0, v17, s[0:1]
	global_load_dwordx4 v[80:83], v[80:81], off offset:896
	s_nop 0
	global_load_dwordx4 v[84:87], v[30:31], off
	s_waitcnt vmcnt(16)
	v_mul_f64 v[88:89], v[14:15], v[24:25]
	v_mul_f64 v[24:25], v[12:13], v[24:25]
	s_waitcnt vmcnt(15)
	v_mul_f64 v[90:91], v[20:21], v[28:29]
	v_mul_f64 v[28:29], v[18:19], v[28:29]
	;; [unrolled: 3-line block ×3, first 2 shown]
	s_waitcnt vmcnt(12)
	v_mul_f64 v[92:93], v[38:39], v[46:47]
	v_fma_f64 v[12:13], v[12:13], v[22:23], v[88:89]
	v_fma_f64 v[14:15], v[14:15], v[22:23], -v[24:25]
	v_mul_f64 v[46:47], v[36:37], v[46:47]
	s_waitcnt vmcnt(10)
	v_mul_f64 v[94:95], v[50:51], v[54:55]
	v_mul_f64 v[54:55], v[48:49], v[54:55]
	v_fma_f64 v[8:9], v[8:9], v[40:41], v[30:31]
	v_fma_f64 v[10:11], v[10:11], v[40:41], -v[42:43]
	ds_write_b128 v34, v[8:11] offset:1920
	ds_write_b128 v34, v[12:15] offset:4992
	v_fma_f64 v[22:23], v[36:37], v[44:45], v[92:93]
	v_fma_f64 v[24:25], v[38:39], v[44:45], -v[46:47]
	s_waitcnt vmcnt(7)
	v_mul_f64 v[96:97], v[58:59], v[66:67]
	v_mul_f64 v[66:67], v[56:57], v[66:67]
	s_waitcnt vmcnt(6)
	v_mul_f64 v[8:9], v[62:63], v[70:71]
	v_mul_f64 v[10:11], v[60:61], v[70:71]
	v_fma_f64 v[18:19], v[18:19], v[26:27], v[90:91]
	v_fma_f64 v[20:21], v[20:21], v[26:27], -v[28:29]
	v_fma_f64 v[26:27], v[48:49], v[52:53], v[94:95]
	v_fma_f64 v[28:29], v[50:51], v[52:53], -v[54:55]
	;; [unrolled: 2-line block ×3, first 2 shown]
	s_waitcnt vmcnt(4)
	v_mul_f64 v[12:13], v[74:75], v[78:79]
	v_mul_f64 v[14:15], v[72:73], v[78:79]
	s_waitcnt vmcnt(2)
	v_mul_f64 v[30:31], v[2:3], v[6:7]
	v_mul_f64 v[40:41], v[0:1], v[6:7]
	v_fma_f64 v[6:7], v[60:61], v[68:69], v[8:9]
	v_fma_f64 v[8:9], v[62:63], v[68:69], -v[10:11]
	v_fma_f64 v[10:11], v[72:73], v[76:77], v[12:13]
	v_fma_f64 v[12:13], v[74:75], v[76:77], -v[14:15]
	v_fma_f64 v[0:1], v[0:1], v[4:5], v[30:31]
	s_waitcnt vmcnt(0)
	v_mul_f64 v[42:43], v[86:87], v[82:83]
	v_mul_f64 v[44:45], v[84:85], v[82:83]
	v_fma_f64 v[2:3], v[2:3], v[4:5], -v[40:41]
	v_fma_f64 v[40:41], v[84:85], v[80:81], v[42:43]
	v_fma_f64 v[42:43], v[86:87], v[80:81], -v[44:45]
	ds_write_b128 v34, v[18:21] offset:8064
	ds_write_b128 v34, v[22:25] offset:11136
	;; [unrolled: 1-line block ×8, first 2 shown]
.LBB0_3:
	s_or_b64 exec, exec, s[14:15]
	s_waitcnt vmcnt(0) lgkmcnt(0)
	s_barrier
	buffer_load_dword v0, off, s[24:27], 0  ; 4-byte Folded Reload
                                        ; implicit-def: $vgpr48_vgpr49
                                        ; implicit-def: $vgpr12_vgpr13
                                        ; implicit-def: $vgpr52_vgpr53
                                        ; implicit-def: $vgpr60_vgpr61
                                        ; implicit-def: $vgpr56_vgpr57
                                        ; implicit-def: $vgpr8_vgpr9
                                        ; implicit-def: $vgpr44_vgpr45
                                        ; implicit-def: $vgpr40_vgpr41
                                        ; implicit-def: $vgpr4_vgpr5
	s_waitcnt vmcnt(0)
	ds_read_b128 v[100:103], v0
	ds_read_b128 v[80:83], v34 offset:3072
	ds_read_b128 v[84:87], v34 offset:6144
	;; [unrolled: 1-line block ×9, first 2 shown]
                                        ; implicit-def: $vgpr0_vgpr1
	s_and_saveexec_b64 s[0:1], vcc
	s_cbranch_execz .LBB0_5
; %bb.4:
	ds_read_b128 v[4:7], v34 offset:1920
	ds_read_b128 v[40:43], v34 offset:4992
	;; [unrolled: 1-line block ×10, first 2 shown]
.LBB0_5:
	s_or_b64 exec, exec, s[0:1]
	s_waitcnt lgkmcnt(3)
	v_add_f64 v[18:19], v[88:89], v[92:93]
	v_add_f64 v[20:21], v[100:101], v[84:85]
	s_waitcnt lgkmcnt(1)
	v_add_f64 v[22:23], v[86:87], -v[98:99]
	s_mov_b32 s2, 0x134454ff
	s_mov_b32 s3, 0x3fee6f0e
	v_add_f64 v[25:26], v[90:91], -v[94:95]
	v_add_f64 v[27:28], v[84:85], -v[88:89]
	;; [unrolled: 1-line block ×3, first 2 shown]
	v_fma_f64 v[18:19], v[18:19], -0.5, v[100:101]
	v_add_f64 v[36:37], v[84:85], v[96:97]
	v_add_f64 v[20:21], v[20:21], v[88:89]
	s_mov_b32 s14, 0x4755a5e
	s_mov_b32 s15, 0x3fe2cf23
	;; [unrolled: 1-line block ×4, first 2 shown]
	v_add_f64 v[27:28], v[27:28], v[29:30]
	v_fma_f64 v[38:39], v[22:23], s[2:3], v[18:19]
	v_fma_f64 v[29:30], v[36:37], -0.5, v[100:101]
	v_add_f64 v[20:21], v[20:21], v[92:93]
	v_fma_f64 v[18:19], v[22:23], s[18:19], v[18:19]
	s_movk_i32 s0, 0x78
	v_add_co_u32_e64 v24, s[0:1], s0, v35
	s_mov_b32 s1, 0xbfe2cf23
	v_fma_f64 v[36:37], v[25:26], s[14:15], v[38:39]
	v_add_f64 v[38:39], v[90:91], v[94:95]
	s_mov_b32 s0, s14
	v_add_f64 v[104:105], v[88:89], -v[84:85]
	v_add_f64 v[106:107], v[92:93], -v[96:97]
	v_fma_f64 v[100:101], v[25:26], s[18:19], v[29:30]
	v_add_f64 v[108:109], v[20:21], v[96:97]
	v_add_f64 v[20:21], v[102:103], v[86:87]
	v_add_f64 v[84:85], v[84:85], -v[96:97]
	v_fma_f64 v[38:39], v[38:39], -0.5, v[102:103]
	v_fma_f64 v[18:19], v[25:26], s[0:1], v[18:19]
	s_mov_b32 s16, 0x372fe950
	s_mov_b32 s17, 0x3fd3c6ef
	v_fma_f64 v[96:97], v[22:23], s[14:15], v[100:101]
	v_add_f64 v[100:101], v[104:105], v[106:107]
	v_fma_f64 v[25:26], v[25:26], s[2:3], v[29:30]
	v_add_f64 v[20:21], v[20:21], v[90:91]
	v_fma_f64 v[29:30], v[84:85], s[18:19], v[38:39]
	v_add_f64 v[88:89], v[88:89], -v[92:93]
	v_add_f64 v[92:93], v[86:87], -v[90:91]
	;; [unrolled: 1-line block ×3, first 2 shown]
	v_fma_f64 v[106:107], v[27:28], s[16:17], v[18:19]
	v_add_f64 v[18:19], v[86:87], v[98:99]
	v_fma_f64 v[36:37], v[27:28], s[16:17], v[36:37]
	v_add_f64 v[20:21], v[20:21], v[94:95]
	v_fma_f64 v[38:39], v[84:85], s[2:3], v[38:39]
	v_fma_f64 v[27:28], v[88:89], s[0:1], v[29:30]
	;; [unrolled: 1-line block ×3, first 2 shown]
	v_add_f64 v[29:30], v[92:93], v[104:105]
	v_add_f64 v[25:26], v[72:73], v[68:69]
	v_fma_f64 v[18:19], v[18:19], -0.5, v[102:103]
	v_fma_f64 v[96:97], v[100:101], s[16:17], v[96:97]
	v_add_f64 v[102:103], v[20:21], v[98:99]
	v_fma_f64 v[20:21], v[88:89], s[14:15], v[38:39]
	v_add_f64 v[38:39], v[90:91], -v[86:87]
	v_add_f64 v[86:87], v[94:95], -v[98:99]
	v_fma_f64 v[104:105], v[29:30], s[16:17], v[27:28]
	v_fma_f64 v[22:23], v[100:101], s[16:17], v[22:23]
	;; [unrolled: 1-line block ×3, first 2 shown]
	v_add_f64 v[92:93], v[80:81], v[76:77]
	v_fma_f64 v[25:26], v[25:26], -0.5, v[80:81]
	s_waitcnt lgkmcnt(0)
	v_add_f64 v[100:101], v[78:79], -v[66:67]
	v_add_f64 v[98:99], v[76:77], v[64:65]
	v_add_f64 v[38:39], v[38:39], v[86:87]
	v_add_f64 v[94:95], v[74:75], -v[70:71]
	v_add_f64 v[110:111], v[76:77], -v[72:73]
	v_fma_f64 v[27:28], v[84:85], s[0:1], v[27:28]
	v_add_f64 v[90:91], v[92:93], v[72:73]
	v_add_f64 v[112:113], v[64:65], -v[68:69]
	v_fma_f64 v[92:93], v[100:101], s[2:3], v[25:26]
	v_fma_f64 v[80:81], v[98:99], -0.5, v[80:81]
	v_fma_f64 v[18:19], v[88:89], s[18:19], v[18:19]
	v_fma_f64 v[29:30], v[29:30], s[16:17], v[20:21]
	;; [unrolled: 1-line block ×4, first 2 shown]
	v_add_f64 v[27:28], v[78:79], v[66:67]
	v_add_f64 v[20:21], v[90:91], v[68:69]
	v_fma_f64 v[86:87], v[94:95], s[14:15], v[92:93]
	v_add_f64 v[88:89], v[110:111], v[112:113]
	v_add_f64 v[90:91], v[74:75], v[70:71]
	v_add_f64 v[110:111], v[72:73], -v[68:69]
	v_fma_f64 v[18:19], v[84:85], s[14:15], v[18:19]
	v_fma_f64 v[84:85], v[94:95], s[18:19], v[80:81]
	v_fma_f64 v[27:28], v[27:28], -0.5, v[82:83]
	v_add_f64 v[92:93], v[20:21], v[64:65]
	v_fma_f64 v[25:26], v[94:95], s[0:1], v[25:26]
	v_fma_f64 v[20:21], v[88:89], s[16:17], v[86:87]
	v_fma_f64 v[86:87], v[90:91], -0.5, v[82:83]
	v_add_f64 v[90:91], v[76:77], -v[64:65]
	v_add_f64 v[72:73], v[72:73], -v[76:77]
	;; [unrolled: 1-line block ×3, first 2 shown]
	v_fma_f64 v[68:69], v[94:95], s[2:3], v[80:81]
	v_add_f64 v[76:77], v[82:83], v[78:79]
	v_fma_f64 v[82:83], v[110:111], s[2:3], v[27:28]
	v_add_f64 v[94:95], v[74:75], -v[78:79]
	v_add_f64 v[112:113], v[70:71], -v[66:67]
	v_fma_f64 v[84:85], v[100:101], s[14:15], v[84:85]
	v_fma_f64 v[80:81], v[90:91], s[18:19], v[86:87]
	v_add_f64 v[78:79], v[78:79], -v[74:75]
	v_add_f64 v[114:115], v[66:67], -v[70:71]
	v_add_f64 v[64:65], v[72:73], v[64:65]
	v_fma_f64 v[27:28], v[110:111], s[18:19], v[27:28]
	v_fma_f64 v[68:69], v[100:101], s[0:1], v[68:69]
	v_add_f64 v[72:73], v[76:77], v[74:75]
	v_fma_f64 v[74:75], v[90:91], s[0:1], v[82:83]
	v_add_f64 v[76:77], v[94:95], v[112:113]
	v_fma_f64 v[82:83], v[90:91], s[2:3], v[86:87]
	v_fma_f64 v[80:81], v[110:111], s[0:1], v[80:81]
	v_add_f64 v[78:79], v[78:79], v[114:115]
	v_fma_f64 v[27:28], v[90:91], s[14:15], v[27:28]
	v_fma_f64 v[86:87], v[88:89], s[16:17], v[25:26]
	;; [unrolled: 1-line block ×5, first 2 shown]
	v_add_f64 v[64:65], v[72:73], v[70:71]
	v_fma_f64 v[68:69], v[110:111], s[14:15], v[82:83]
	v_fma_f64 v[70:71], v[78:79], s[16:17], v[80:81]
	;; [unrolled: 1-line block ×3, first 2 shown]
	s_mov_b32 s20, 0x9b97f4a8
	s_mov_b32 s21, 0x3fe9e377
	v_mul_f64 v[80:81], v[84:85], s[16:17]
	v_mul_f64 v[76:77], v[74:75], s[2:3]
	v_add_f64 v[82:83], v[64:65], v[66:67]
	v_fma_f64 v[64:65], v[78:79], s[16:17], v[68:69]
	v_mul_f64 v[72:73], v[20:21], s[20:21]
	v_mul_f64 v[66:67], v[86:87], s[20:21]
	;; [unrolled: 1-line block ×3, first 2 shown]
	v_fma_f64 v[38:39], v[38:39], s[16:17], v[18:19]
	v_fma_f64 v[90:91], v[27:28], s[2:3], -v[80:81]
	v_fma_f64 v[88:89], v[25:26], s[16:17], v[76:77]
	v_mul_f64 v[27:28], v[27:28], s[16:17]
	v_mul_f64 v[76:77], v[64:65], s[20:21]
	v_fma_f64 v[78:79], v[70:71], s[14:15], v[72:73]
	v_add_f64 v[18:19], v[108:109], v[92:93]
	v_mul_f64 v[72:73], v[25:26], s[18:19]
	v_fma_f64 v[100:101], v[70:71], s[20:21], v[20:21]
	v_add_f64 v[116:117], v[2:3], -v[62:63]
	v_fma_f64 v[94:95], v[64:65], s[14:15], -v[66:67]
	v_fma_f64 v[112:113], v[84:85], s[18:19], -v[27:28]
	;; [unrolled: 1-line block ×3, first 2 shown]
	v_add_f64 v[84:85], v[0:1], v[4:5]
	v_add_f64 v[86:87], v[12:13], v[8:9]
	;; [unrolled: 1-line block ×3, first 2 shown]
	v_add_f64 v[76:77], v[108:109], -v[92:93]
	v_add_f64 v[80:81], v[36:37], -v[78:79]
	v_add_f64 v[64:65], v[96:97], v[88:89]
	v_add_f64 v[68:69], v[22:23], v[90:91]
	;; [unrolled: 1-line block ×4, first 2 shown]
	v_fma_f64 v[108:109], v[86:87], -0.5, v[4:5]
	v_add_f64 v[27:28], v[104:105], v[100:101]
	v_add_f64 v[84:85], v[96:97], -v[88:89]
	v_add_f64 v[88:89], v[22:23], -v[90:91]
	;; [unrolled: 1-line block ×3, first 2 shown]
	v_add_f64 v[22:23], v[60:61], v[0:1]
	v_add_f64 v[82:83], v[104:105], -v[100:101]
	v_add_f64 v[36:37], v[12:13], v[36:37]
	v_fma_f64 v[96:97], v[116:117], s[2:3], v[108:109]
	v_add_f64 v[100:101], v[10:11], -v[14:15]
	v_add_f64 v[102:103], v[0:1], -v[8:9]
	;; [unrolled: 1-line block ×3, first 2 shown]
	v_fma_f64 v[110:111], v[74:75], s[16:17], v[72:73]
	v_add_f64 v[72:73], v[106:107], v[94:95]
	v_add_f64 v[70:71], v[38:39], v[112:113]
	;; [unrolled: 1-line block ×3, first 2 shown]
	v_add_f64 v[92:93], v[106:107], -v[94:95]
	v_fma_f64 v[22:23], v[22:23], -0.5, v[4:5]
	v_add_f64 v[90:91], v[38:39], -v[112:113]
	v_add_f64 v[94:95], v[29:30], -v[114:115]
	v_add_f64 v[4:5], v[60:61], v[36:37]
	v_fma_f64 v[29:30], v[100:101], s[14:15], v[96:97]
	v_add_f64 v[36:37], v[14:15], v[10:11]
	v_add_f64 v[38:39], v[104:105], v[102:103]
	v_fma_f64 v[96:97], v[116:117], s[18:19], v[108:109]
	v_add_f64 v[66:67], v[98:99], v[110:111]
	v_add_f64 v[86:87], v[98:99], -v[110:111]
	v_fma_f64 v[98:99], v[100:101], s[18:19], v[22:23]
	v_add_f64 v[102:103], v[8:9], -v[0:1]
	v_add_f64 v[104:105], v[12:13], -v[60:61]
	v_fma_f64 v[22:23], v[100:101], s[2:3], v[22:23]
	v_add_f64 v[106:107], v[2:3], v[6:7]
	v_fma_f64 v[36:37], v[36:37], -0.5, v[6:7]
	v_add_f64 v[60:61], v[0:1], -v[60:61]
	v_fma_f64 v[0:1], v[38:39], s[16:17], v[29:30]
	v_fma_f64 v[29:30], v[100:101], s[0:1], v[96:97]
	v_add_f64 v[100:101], v[62:63], v[2:3]
	v_fma_f64 v[96:97], v[116:117], s[14:15], v[98:99]
	v_add_f64 v[98:99], v[104:105], v[102:103]
	;; [unrolled: 2-line block ×3, first 2 shown]
	v_fma_f64 v[104:105], v[60:61], s[18:19], v[36:37]
	v_add_f64 v[8:9], v[8:9], -v[12:13]
	v_fma_f64 v[29:30], v[38:39], s[16:17], v[29:30]
	v_fma_f64 v[6:7], v[100:101], -0.5, v[6:7]
	v_add_f64 v[12:13], v[2:3], -v[10:11]
	v_add_f64 v[38:39], v[62:63], -v[14:15]
	v_fma_f64 v[96:97], v[98:99], s[16:17], v[96:97]
	v_fma_f64 v[22:23], v[98:99], s[16:17], v[22:23]
	v_add_f64 v[98:99], v[14:15], v[102:103]
	v_fma_f64 v[100:101], v[8:9], s[0:1], v[104:105]
	v_add_f64 v[102:103], v[44:45], v[40:41]
	v_add_f64 v[104:105], v[48:49], v[52:53]
	v_fma_f64 v[36:37], v[60:61], s[2:3], v[36:37]
	v_add_f64 v[10:11], v[10:11], -v[2:3]
	v_add_f64 v[14:15], v[14:15], -v[62:63]
	v_fma_f64 v[106:107], v[8:9], s[18:19], v[6:7]
	v_add_f64 v[12:13], v[38:39], v[12:13]
	v_fma_f64 v[38:39], v[8:9], s[2:3], v[6:7]
	v_add_f64 v[102:103], v[48:49], v[102:103]
	v_fma_f64 v[104:105], v[104:105], -0.5, v[40:41]
	v_add_f64 v[108:109], v[46:47], -v[58:59]
	v_fma_f64 v[8:9], v[8:9], s[14:15], v[36:37]
	v_add_f64 v[10:11], v[14:15], v[10:11]
	v_fma_f64 v[14:15], v[60:61], s[14:15], v[106:107]
	v_add_f64 v[2:3], v[62:63], v[98:99]
	v_fma_f64 v[6:7], v[12:13], s[16:17], v[100:101]
	v_fma_f64 v[36:37], v[60:61], s[0:1], v[38:39]
	v_add_f64 v[38:39], v[52:53], v[102:103]
	v_fma_f64 v[60:61], v[108:109], s[2:3], v[104:105]
	v_add_f64 v[62:63], v[50:51], -v[54:55]
	v_add_f64 v[98:99], v[44:45], -v[48:49]
	;; [unrolled: 1-line block ×3, first 2 shown]
	v_fma_f64 v[102:103], v[12:13], s[16:17], v[8:9]
	v_add_f64 v[12:13], v[56:57], v[44:45]
	v_fma_f64 v[110:111], v[10:11], s[16:17], v[14:15]
	v_add_f64 v[14:15], v[58:59], v[46:47]
	;; [unrolled: 2-line block ×5, first 2 shown]
	v_fma_f64 v[12:13], v[12:13], -0.5, v[40:41]
	v_add_f64 v[40:41], v[48:49], -v[44:45]
	v_add_f64 v[100:101], v[52:53], -v[56:57]
	;; [unrolled: 1-line block ×3, first 2 shown]
	v_fma_f64 v[14:15], v[14:15], -0.5, v[42:43]
	v_fma_f64 v[52:53], v[38:39], s[16:17], v[10:11]
	v_fma_f64 v[10:11], v[62:63], s[0:1], v[60:61]
	v_fma_f64 v[60:61], v[98:99], -0.5, v[42:43]
	v_add_f64 v[44:45], v[44:45], -v[56:57]
	v_fma_f64 v[56:57], v[62:63], s[18:19], v[12:13]
	v_add_f64 v[40:41], v[100:101], v[40:41]
	v_fma_f64 v[12:13], v[62:63], s[2:3], v[12:13]
	v_fma_f64 v[62:63], v[48:49], s[2:3], v[14:15]
	v_add_f64 v[98:99], v[50:51], -v[46:47]
	v_add_f64 v[100:101], v[54:55], -v[58:59]
	v_add_f64 v[42:43], v[46:47], v[42:43]
	v_fma_f64 v[104:105], v[44:45], s[18:19], v[60:61]
	v_add_f64 v[46:47], v[46:47], -v[50:51]
	v_add_f64 v[106:107], v[58:59], -v[54:55]
	v_fma_f64 v[14:15], v[48:49], s[18:19], v[14:15]
	v_fma_f64 v[60:61], v[44:45], s[2:3], v[60:61]
	;; [unrolled: 1-line block ×3, first 2 shown]
	v_add_f64 v[98:99], v[100:101], v[98:99]
	v_fma_f64 v[12:13], v[108:109], s[0:1], v[12:13]
	v_fma_f64 v[56:57], v[108:109], s[14:15], v[56:57]
	v_add_f64 v[42:43], v[50:51], v[42:43]
	v_add_f64 v[46:47], v[106:107], v[46:47]
	v_fma_f64 v[14:15], v[44:45], s[14:15], v[14:15]
	v_fma_f64 v[44:45], v[48:49], s[14:15], v[60:61]
	;; [unrolled: 1-line block ×6, first 2 shown]
	v_add_f64 v[10:11], v[54:55], v[42:43]
	v_fma_f64 v[40:41], v[40:41], s[16:17], v[56:57]
	v_fma_f64 v[14:15], v[98:99], s[16:17], v[14:15]
	;; [unrolled: 1-line block ×4, first 2 shown]
	v_mul_f64 v[46:47], v[50:51], s[2:3]
	v_mul_f64 v[48:49], v[12:13], s[16:17]
	;; [unrolled: 1-line block ×3, first 2 shown]
	v_add_f64 v[10:11], v[58:59], v[10:11]
	v_mul_f64 v[56:57], v[40:41], s[18:19]
	v_mul_f64 v[58:59], v[14:15], s[16:17]
	;; [unrolled: 1-line block ×4, first 2 shown]
	v_fma_f64 v[40:41], v[40:41], s[16:17], v[46:47]
	v_fma_f64 v[46:47], v[14:15], s[2:3], -v[48:49]
	v_mul_f64 v[14:15], v[52:53], s[0:1]
	v_fma_f64 v[42:43], v[42:43], s[14:15], -v[54:55]
	v_fma_f64 v[48:49], v[50:51], s[16:17], v[56:57]
	v_fma_f64 v[50:51], v[12:13], s[18:19], -v[58:59]
	v_fma_f64 v[38:39], v[38:39], s[0:1], -v[60:61]
	v_fma_f64 v[12:13], v[52:53], s[20:21], v[62:63]
	v_add_f64 v[104:105], v[96:97], v[40:41]
	v_add_f64 v[56:57], v[22:23], v[46:47]
	v_fma_f64 v[14:15], v[44:45], s[20:21], v[14:15]
	v_add_f64 v[120:121], v[29:30], v[42:43]
	v_add_f64 v[106:107], v[36:37], v[48:49]
	v_add_f64 v[58:59], v[110:111], v[50:51]
	v_add_f64 v[122:123], v[102:103], v[38:39]
	v_add_f64 v[128:129], v[4:5], -v[8:9]
	v_add_f64 v[132:133], v[0:1], -v[12:13]
	;; [unrolled: 1-line block ×10, first 2 shown]
	s_load_dwordx2 s[4:5], s[4:5], 0x8
	v_mul_lo_u16_e32 v22, 10, v35
	v_add_lshl_u32 v36, v175, v22, 4
	s_waitcnt lgkmcnt(0)
	s_barrier
	ds_write_b128 v36, v[18:21]
	ds_write_b128 v36, v[25:28] offset:16
	ds_write_b128 v36, v[64:67] offset:32
	;; [unrolled: 1-line block ×9, first 2 shown]
	v_mul_u32_u24_e32 v18, 10, v24
	buffer_store_dword v18, off, s[24:27], 0 offset:268 ; 4-byte Folded Spill
	s_and_saveexec_b64 s[0:1], vcc
	s_cbranch_execz .LBB0_7
; %bb.6:
	v_add_f64 v[10:11], v[10:11], v[2:3]
	v_add_f64 v[8:9], v[8:9], v[4:5]
	v_add_f64 v[6:7], v[6:7], v[14:15]
	v_add_f64 v[4:5], v[0:1], v[12:13]
	v_mul_u32_u24_e32 v0, 10, v24
	v_add_lshl_u32 v0, v175, v0, 4
	ds_write_b128 v0, v[104:107] offset:32
	ds_write_b128 v0, v[56:59] offset:48
	ds_write_b128 v0, v[8:11]
	ds_write_b128 v0, v[4:7] offset:16
	ds_write_b128 v0, v[120:123] offset:64
	;; [unrolled: 1-line block ×7, first 2 shown]
.LBB0_7:
	s_or_b64 exec, exec, s[0:1]
	s_waitcnt vmcnt(0) lgkmcnt(0)
	s_barrier
	buffer_load_dword v0, off, s[24:27], 0  ; 4-byte Folded Reload
	s_movk_i32 s14, 0x50
	v_cmp_gt_u16_e64 s[0:1], s14, v35
	s_waitcnt vmcnt(0)
	ds_read_b128 v[124:127], v0
	ds_read_b128 v[112:115], v34 offset:1920
	ds_read_b128 v[64:67], v34 offset:5120
	;; [unrolled: 1-line block ×11, first 2 shown]
	s_and_saveexec_b64 s[2:3], s[0:1]
	s_cbranch_execz .LBB0_9
; %bb.8:
	ds_read_b128 v[104:107], v34 offset:3840
	ds_read_b128 v[56:59], v34 offset:8960
	;; [unrolled: 1-line block ×6, first 2 shown]
.LBB0_9:
	s_or_b64 exec, exec, s[2:3]
	s_movk_i32 s15, 0xcd
	v_mul_lo_u16_sdwa v18, v35, s15 dst_sel:DWORD dst_unused:UNUSED_PAD src0_sel:BYTE_0 src1_sel:DWORD
	v_lshrrev_b16_e32 v38, 11, v18
	v_mul_lo_u16_e32 v18, 10, v38
	v_sub_u16_e32 v18, v35, v18
	v_mov_b32_e32 v26, s5
	v_and_b32_e32 v39, 0xff, v18
	v_mov_b32_e32 v25, s4
	v_mad_u64_u32 v[22:23], s[2:3], v39, s14, v[25:26]
	global_load_dwordx4 v[76:79], v[22:23], off offset:48
	global_load_dwordx4 v[84:87], v[22:23], off offset:32
	;; [unrolled: 1-line block ×3, first 2 shown]
	global_load_dwordx4 v[96:99], v[22:23], off
	global_load_dwordx4 v[80:83], v[22:23], off offset:64
	v_mul_lo_u16_sdwa v31, v24, s15 dst_sel:DWORD dst_unused:UNUSED_PAD src0_sel:BYTE_0 src1_sel:DWORD
	v_lshrrev_b16_e32 v37, 11, v31
	v_mul_lo_u16_e32 v31, 10, v37
	v_sub_u16_e32 v24, v24, v31
	v_and_b32_e32 v160, 0xff, v24
	v_mad_u64_u32 v[24:25], s[2:3], v160, s14, v[25:26]
	s_mov_b32 s14, 0xe8584caa
	s_mov_b32 s15, 0x3febb67a
	v_mul_u32_u24_e32 v32, 60, v38
	v_add_u32_e32 v32, v32, v39
	v_add_lshl_u32 v39, v175, v32, 4
	v_mul_u32_u24_e32 v32, 60, v37
	v_add_u32_e32 v32, v32, v160
	v_add_lshl_u32 v37, v175, v32, 4
	s_waitcnt vmcnt(1) lgkmcnt(9)
	v_mul_f64 v[18:19], v[66:67], v[98:99]
	s_waitcnt vmcnt(0) lgkmcnt(1)
	v_mul_f64 v[22:23], v[46:47], v[82:83]
	v_fma_f64 v[27:28], v[64:65], v[96:97], -v[18:19]
	v_mul_f64 v[18:19], v[64:65], v[98:99]
	v_fma_f64 v[22:23], v[44:45], v[80:81], -v[22:23]
	v_mul_f64 v[44:45], v[44:45], v[82:83]
	v_fma_f64 v[20:21], v[66:67], v[96:97], v[18:19]
	v_mul_f64 v[18:19], v[62:63], v[94:95]
	v_fma_f64 v[158:159], v[46:47], v[80:81], v[44:45]
	v_fma_f64 v[29:30], v[60:61], v[92:93], -v[18:19]
	v_mul_f64 v[18:19], v[60:61], v[94:95]
	v_fma_f64 v[163:164], v[62:63], v[92:93], v[18:19]
	global_load_dwordx4 v[60:63], v[24:25], off offset:48
	global_load_dwordx4 v[64:67], v[24:25], off offset:32
	;; [unrolled: 1-line block ×3, first 2 shown]
	global_load_dwordx4 v[88:91], v[24:25], off
	global_load_dwordx4 v[68:71], v[24:25], off offset:64
	v_mul_f64 v[18:19], v[54:55], v[86:87]
	v_fma_f64 v[18:19], v[52:53], v[84:85], -v[18:19]
	v_mul_f64 v[52:53], v[52:53], v[86:87]
	v_fma_f64 v[156:157], v[54:55], v[84:85], v[52:53]
	v_mul_f64 v[52:53], v[50:51], v[78:79]
	v_fma_f64 v[165:166], v[48:49], v[76:77], -v[52:53]
	v_mul_f64 v[48:49], v[48:49], v[78:79]
	v_fma_f64 v[167:168], v[50:51], v[76:77], v[48:49]
	s_waitcnt vmcnt(1)
	v_mul_f64 v[44:45], v[42:43], v[90:91]
	v_fma_f64 v[144:145], v[40:41], v[88:89], -v[44:45]
	v_mul_f64 v[40:41], v[40:41], v[90:91]
	v_fma_f64 v[136:137], v[42:43], v[88:89], v[40:41]
	v_mul_f64 v[40:41], v[14:15], v[74:75]
	v_fma_f64 v[148:149], v[12:13], v[72:73], -v[40:41]
	v_mul_f64 v[12:13], v[12:13], v[74:75]
	v_fma_f64 v[150:151], v[14:15], v[72:73], v[12:13]
	;; [unrolled: 4-line block ×4, first 2 shown]
	s_waitcnt vmcnt(0) lgkmcnt(0)
	v_mul_f64 v[4:5], v[2:3], v[70:71]
	v_fma_f64 v[140:141], v[0:1], v[68:69], -v[4:5]
	v_mul_f64 v[0:1], v[0:1], v[70:71]
	v_fma_f64 v[146:147], v[2:3], v[68:69], v[0:1]
	v_add_u16_e32 v0, 0xf0, v35
	v_mul_u32_u24_e32 v1, 0xcccd, v0
	v_lshrrev_b32_e32 v161, 19, v1
	v_mul_lo_u16_e32 v1, 10, v161
	v_sub_u16_e32 v162, v0, v1
	v_mul_lo_u16_e32 v0, 0x50, v162
	v_add_co_u32_e64 v24, s[2:3], s4, v0
	v_mov_b32_e32 v0, s5
	v_addc_co_u32_e64 v25, s[2:3], 0, v0, s[2:3]
	global_load_dwordx4 v[40:43], v[24:25], off offset:48
	global_load_dwordx4 v[44:47], v[24:25], off offset:32
	;; [unrolled: 1-line block ×3, first 2 shown]
	global_load_dwordx4 v[4:7], v[24:25], off
	s_mov_b32 s3, 0xbfebb67a
	s_mov_b32 s2, s14
	v_mad_legacy_u16 v54, v161, 60, v162
	s_waitcnt vmcnt(0)
	v_mul_f64 v[0:1], v[58:59], v[6:7]
	v_mul_f64 v[2:3], v[56:57], v[6:7]
	v_fma_f64 v[0:1], v[56:57], v[4:5], -v[0:1]
	buffer_store_dword v4, off, s[24:27], 0 offset:252 ; 4-byte Folded Spill
	s_nop 0
	buffer_store_dword v5, off, s[24:27], 0 offset:256 ; 4-byte Folded Spill
	buffer_store_dword v6, off, s[24:27], 0 offset:260 ; 4-byte Folded Spill
	;; [unrolled: 1-line block ×3, first 2 shown]
	v_fma_f64 v[6:7], v[58:59], v[4:5], v[2:3]
	v_mul_f64 v[2:3], v[122:123], v[10:11]
	v_mul_f64 v[4:5], v[120:121], v[10:11]
	v_fma_f64 v[2:3], v[120:121], v[8:9], -v[2:3]
	buffer_store_dword v8, off, s[24:27], 0 offset:236 ; 4-byte Folded Spill
	s_nop 0
	buffer_store_dword v9, off, s[24:27], 0 offset:240 ; 4-byte Folded Spill
	buffer_store_dword v10, off, s[24:27], 0 offset:244 ; 4-byte Folded Spill
	;; [unrolled: 1-line block ×3, first 2 shown]
	v_mul_f64 v[10:11], v[132:133], v[42:43]
	v_fma_f64 v[12:13], v[122:123], v[8:9], v[4:5]
	v_mul_f64 v[4:5], v[130:131], v[46:47]
	v_mul_f64 v[8:9], v[128:129], v[46:47]
	v_add_f64 v[122:123], v[163:164], v[167:168]
	v_fma_f64 v[4:5], v[128:129], v[44:45], -v[4:5]
	buffer_store_dword v44, off, s[24:27], 0 offset:220 ; 4-byte Folded Spill
	s_nop 0
	buffer_store_dword v45, off, s[24:27], 0 offset:224 ; 4-byte Folded Spill
	buffer_store_dword v46, off, s[24:27], 0 offset:228 ; 4-byte Folded Spill
	;; [unrolled: 1-line block ×3, first 2 shown]
	v_fma_f64 v[122:123], v[122:123], -0.5, v[126:127]
	v_fma_f64 v[14:15], v[130:131], v[44:45], v[8:9]
	v_mul_f64 v[8:9], v[134:135], v[42:43]
	v_fma_f64 v[8:9], v[132:133], v[40:41], -v[8:9]
	buffer_store_dword v40, off, s[24:27], 0 offset:204 ; 4-byte Folded Spill
	s_nop 0
	buffer_store_dword v41, off, s[24:27], 0 offset:208 ; 4-byte Folded Spill
	buffer_store_dword v42, off, s[24:27], 0 offset:212 ; 4-byte Folded Spill
	;; [unrolled: 1-line block ×3, first 2 shown]
	global_load_dwordx4 v[56:59], v[24:25], off offset:64
	v_add_f64 v[42:43], v[163:164], -v[167:168]
	s_waitcnt vmcnt(0)
	s_barrier
	v_fma_f64 v[10:11], v[134:135], v[40:41], v[10:11]
	v_add_f64 v[40:41], v[29:30], v[165:166]
	v_mul_f64 v[24:25], v[118:119], v[58:59]
	v_fma_f64 v[40:41], v[40:41], -0.5, v[124:125]
	v_fma_f64 v[120:121], v[116:117], v[56:57], -v[24:25]
	v_mul_f64 v[24:25], v[116:117], v[58:59]
	v_fma_f64 v[116:117], v[118:119], v[56:57], v[24:25]
	v_add_f64 v[24:25], v[124:125], v[29:30]
	v_add_f64 v[29:30], v[29:30], -v[165:166]
	v_fma_f64 v[118:119], v[42:43], s[14:15], v[40:41]
	v_fma_f64 v[40:41], v[42:43], s[2:3], v[40:41]
	v_add_f64 v[42:43], v[126:127], v[163:164]
	v_add_f64 v[24:25], v[24:25], v[165:166]
	v_fma_f64 v[134:135], v[29:30], s[2:3], v[122:123]
	v_fma_f64 v[29:30], v[29:30], s[14:15], v[122:123]
	v_add_f64 v[122:123], v[27:28], v[18:19]
	v_add_f64 v[42:43], v[42:43], v[167:168]
	;; [unrolled: 1-line block ×4, first 2 shown]
	v_add_f64 v[18:19], v[18:19], -v[22:23]
	v_fma_f64 v[26:27], v[122:123], -0.5, v[27:28]
	v_add_f64 v[122:123], v[156:157], -v[158:159]
	v_fma_f64 v[128:129], v[122:123], s[14:15], v[26:27]
	v_fma_f64 v[26:27], v[122:123], s[2:3], v[26:27]
	v_add_f64 v[122:123], v[20:21], v[156:157]
	v_mul_f64 v[124:125], v[26:27], -0.5
	v_add_f64 v[165:166], v[122:123], v[158:159]
	v_add_f64 v[122:123], v[156:157], v[158:159]
	v_add_f64 v[156:157], v[24:25], -v[163:164]
	v_fma_f64 v[20:21], v[122:123], -0.5, v[20:21]
	v_add_f64 v[122:123], v[24:25], v[163:164]
	v_fma_f64 v[22:23], v[18:19], s[2:3], v[20:21]
	v_fma_f64 v[18:19], v[18:19], s[14:15], v[20:21]
	v_mul_f64 v[20:21], v[22:23], s[14:15]
	v_fma_f64 v[158:159], v[18:19], s[14:15], v[124:125]
	v_mul_f64 v[18:19], v[18:19], -0.5
	v_add_f64 v[124:125], v[42:43], v[165:166]
	v_fma_f64 v[20:21], v[128:129], 0.5, v[20:21]
	v_mul_f64 v[128:129], v[128:129], s[2:3]
	v_add_f64 v[130:131], v[40:41], v[158:159]
	v_fma_f64 v[18:19], v[26:27], s[2:3], v[18:19]
	v_add_f64 v[167:168], v[40:41], -v[158:159]
	v_add_f64 v[158:159], v[42:43], -v[165:166]
	v_add_f64 v[26:27], v[150:151], v[154:155]
	v_add_f64 v[40:41], v[138:139], v[140:141]
	;; [unrolled: 1-line block ×3, first 2 shown]
	v_fma_f64 v[22:23], v[22:23], 0.5, v[128:129]
	v_add_f64 v[163:164], v[118:119], -v[20:21]
	v_add_f64 v[20:21], v[148:149], v[152:153]
	v_add_f64 v[132:133], v[29:30], v[18:19]
	v_add_f64 v[169:170], v[29:30], -v[18:19]
	v_fma_f64 v[26:27], v[26:27], -0.5, v[114:115]
	v_add_f64 v[28:29], v[148:149], -v[152:153]
	v_fma_f64 v[40:41], v[40:41], -0.5, v[144:145]
	v_add_f64 v[128:129], v[134:135], v[22:23]
	v_add_f64 v[165:166], v[134:135], -v[22:23]
	v_fma_f64 v[20:21], v[20:21], -0.5, v[112:113]
	v_add_f64 v[22:23], v[150:151], -v[154:155]
	v_add_f64 v[42:43], v[142:143], -v[146:147]
	v_add_f64 v[18:19], v[112:113], v[148:149]
	v_fma_f64 v[30:31], v[28:29], s[2:3], v[26:27]
	v_fma_f64 v[26:27], v[28:29], s[14:15], v[26:27]
	v_add_f64 v[28:29], v[144:145], v[138:139]
	v_add_f64 v[118:119], v[138:139], -v[140:141]
	ds_write_b128 v39, v[122:125]
	ds_write_b128 v39, v[126:129] offset:160
	ds_write_b128 v39, v[130:133] offset:320
	;; [unrolled: 1-line block ×5, first 2 shown]
	v_fma_f64 v[24:25], v[22:23], s[14:15], v[20:21]
	v_fma_f64 v[20:21], v[22:23], s[2:3], v[20:21]
	v_add_f64 v[22:23], v[114:115], v[150:151]
	v_add_f64 v[114:115], v[142:143], v[146:147]
	v_fma_f64 v[112:113], v[42:43], s[14:15], v[40:41]
	v_fma_f64 v[40:41], v[42:43], s[2:3], v[40:41]
	v_add_f64 v[18:19], v[18:19], v[152:153]
	v_add_f64 v[28:29], v[28:29], v[140:141]
	;; [unrolled: 1-line block ×4, first 2 shown]
	v_fma_f64 v[114:115], v[114:115], -0.5, v[136:137]
	v_mul_f64 v[136:137], v[40:41], -0.5
	v_add_f64 v[134:135], v[18:19], v[28:29]
	v_add_f64 v[42:43], v[42:43], v[146:147]
	v_add_f64 v[146:147], v[18:19], -v[28:29]
	v_add_f64 v[18:19], v[2:3], v[8:9]
	v_fma_f64 v[140:141], v[118:119], s[2:3], v[114:115]
	v_fma_f64 v[114:115], v[118:119], s[14:15], v[114:115]
	v_add_f64 v[28:29], v[14:15], -v[116:117]
	v_mul_f64 v[118:119], v[140:141], s[14:15]
	v_fma_f64 v[148:149], v[114:115], s[14:15], v[136:137]
	v_add_f64 v[136:137], v[22:23], v[42:43]
	v_mul_f64 v[114:115], v[114:115], -0.5
	v_fma_f64 v[118:119], v[112:113], 0.5, v[118:119]
	v_add_f64 v[142:143], v[20:21], v[148:149]
	v_add_f64 v[171:172], v[20:21], -v[148:149]
	v_add_f64 v[148:149], v[22:23], -v[42:43]
	v_fma_f64 v[20:21], v[18:19], -0.5, v[104:105]
	v_add_f64 v[22:23], v[12:13], -v[10:11]
	v_fma_f64 v[40:41], v[40:41], s[2:3], v[114:115]
	v_mul_f64 v[112:113], v[112:113], s[2:3]
	v_add_f64 v[138:139], v[24:25], v[118:119]
	v_add_f64 v[150:151], v[24:25], -v[118:119]
	v_fma_f64 v[18:19], v[22:23], s[14:15], v[20:21]
	v_fma_f64 v[20:21], v[22:23], s[2:3], v[20:21]
	v_add_f64 v[22:23], v[12:13], v[10:11]
	v_add_f64 v[144:145], v[26:27], v[40:41]
	v_add_f64 v[173:174], v[26:27], -v[40:41]
	v_add_f64 v[26:27], v[2:3], -v[8:9]
	v_fma_f64 v[112:113], v[140:141], 0.5, v[112:113]
	v_fma_f64 v[24:25], v[22:23], -0.5, v[106:107]
	v_add_f64 v[140:141], v[30:31], v[112:113]
	v_add_f64 v[152:153], v[30:31], -v[112:113]
	ds_write_b128 v37, v[134:137]
	ds_write_b128 v37, v[138:141] offset:160
	ds_write_b128 v37, v[142:145] offset:320
	;; [unrolled: 1-line block ×5, first 2 shown]
	v_fma_f64 v[22:23], v[26:27], s[2:3], v[24:25]
	v_fma_f64 v[24:25], v[26:27], s[14:15], v[24:25]
	v_add_f64 v[26:27], v[4:5], v[120:121]
	v_fma_f64 v[26:27], v[26:27], -0.5, v[0:1]
	v_fma_f64 v[30:31], v[28:29], s[14:15], v[26:27]
	v_fma_f64 v[40:41], v[28:29], s[2:3], v[26:27]
	v_add_f64 v[26:27], v[14:15], v[116:117]
	v_add_f64 v[28:29], v[4:5], -v[120:121]
	v_fma_f64 v[26:27], v[26:27], -0.5, v[6:7]
	v_fma_f64 v[42:43], v[28:29], s[2:3], v[26:27]
	v_fma_f64 v[114:115], v[28:29], s[14:15], v[26:27]
	v_mul_f64 v[28:29], v[40:41], -0.5
	v_mul_f64 v[26:27], v[42:43], s[14:15]
	v_fma_f64 v[112:113], v[114:115], s[14:15], v[28:29]
	v_mul_f64 v[28:29], v[30:31], s[2:3]
	v_fma_f64 v[26:27], v[30:31], 0.5, v[26:27]
	v_mul_f64 v[30:31], v[114:115], -0.5
	v_add_f64 v[200:201], v[20:21], -v[112:113]
	v_fma_f64 v[28:29], v[42:43], 0.5, v[28:29]
	v_add_f64 v[204:205], v[18:19], -v[26:27]
	v_fma_f64 v[30:31], v[40:41], s[2:3], v[30:31]
	v_add_f64 v[206:207], v[22:23], -v[28:29]
	v_add_f64 v[202:203], v[24:25], -v[30:31]
	s_and_saveexec_b64 s[2:3], s[0:1]
	s_cbranch_execz .LBB0_11
; %bb.10:
	v_add_f64 v[12:13], v[106:107], v[12:13]
	v_add_f64 v[6:7], v[6:7], v[14:15]
	;; [unrolled: 1-line block ×5, first 2 shown]
	v_add_lshl_u32 v18, v175, v54, 4
	v_add_f64 v[12:13], v[12:13], v[10:11]
	v_add_f64 v[14:15], v[6:7], v[116:117]
	;; [unrolled: 1-line block ×7, first 2 shown]
	v_add_f64 v[10:11], v[12:13], -v[14:15]
	v_add_f64 v[14:15], v[12:13], v[14:15]
	v_add_f64 v[12:13], v[8:9], v[40:41]
	v_add_f64 v[8:9], v[8:9], -v[40:41]
	ds_write_b128 v18, v[204:207] offset:640
	ds_write_b128 v18, v[4:7] offset:160
	;; [unrolled: 1-line block ×3, first 2 shown]
	ds_write_b128 v18, v[12:15]
	ds_write_b128 v18, v[8:11] offset:480
	ds_write_b128 v18, v[200:203] offset:800
.LBB0_11:
	s_or_b64 exec, exec, s[2:3]
	s_waitcnt lgkmcnt(0)
	s_barrier
	buffer_load_dword v52, off, s[24:27], 0 ; 4-byte Folded Reload
	v_subrev_u32_e32 v12, 60, v35
	v_cmp_gt_u16_e64 s[2:3], 60, v35
	v_cndmask_b32_e64 v12, v12, v35, s[2:3]
	v_mul_i32_i24_e32 v13, 0xf0, v12
	v_mul_hi_i32_i24_e32 v14, 0xf0, v12
	v_add_co_u32_e64 v13, s[2:3], s4, v13
	v_mov_b32_e32 v18, s5
	v_addc_co_u32_e64 v14, s[2:3], v18, v14, s[2:3]
	v_mov_b32_e32 v15, v175
	s_mov_b32 s2, 0x667f3bcd
	s_mov_b32 s3, 0xbfe6a09e
	;; [unrolled: 1-line block ×12, first 2 shown]
	v_mov_b32_e32 v53, v15
	s_movk_i32 s5, 0x5000
	s_add_u32 s12, s12, 0x7800
	s_addc_u32 s13, s13, 0
	s_waitcnt vmcnt(0)
	ds_read_b128 v[168:171], v52
	ds_read_b128 v[19:22], v34 offset:1920
	ds_read_b128 v[23:26], v34 offset:3840
	;; [unrolled: 1-line block ×15, first 2 shown]
	global_load_dwordx4 v[104:107], v[13:14], off offset:848
	global_load_dwordx4 v[116:119], v[13:14], off offset:832
	;; [unrolled: 1-line block ×4, first 2 shown]
	s_waitcnt vmcnt(3) lgkmcnt(11)
	v_mul_f64 v[42:43], v[112:113], v[106:107]
	s_waitcnt vmcnt(0)
	v_mul_f64 v[40:41], v[21:22], v[134:135]
	v_fma_f64 v[42:43], v[114:115], v[104:105], v[42:43]
	v_fma_f64 v[40:41], v[19:20], v[132:133], -v[40:41]
	v_mul_f64 v[19:20], v[19:20], v[134:135]
	v_fma_f64 v[19:20], v[21:22], v[132:133], v[19:20]
	v_mul_f64 v[21:22], v[25:26], v[122:123]
	v_fma_f64 v[21:22], v[23:24], v[120:121], -v[21:22]
	v_mul_f64 v[23:24], v[23:24], v[122:123]
	v_fma_f64 v[23:24], v[25:26], v[120:121], v[23:24]
	v_mul_f64 v[25:26], v[29:30], v[118:119]
	;; [unrolled: 4-line block ×3, first 2 shown]
	v_fma_f64 v[29:30], v[112:113], v[104:105], -v[29:30]
	global_load_dwordx4 v[112:115], v[13:14], off offset:912
	global_load_dwordx4 v[124:127], v[13:14], off offset:896
	;; [unrolled: 1-line block ×4, first 2 shown]
	s_waitcnt vmcnt(0) lgkmcnt(10)
	v_mul_f64 v[160:161], v[138:139], v[150:151]
	v_fma_f64 v[180:181], v[136:137], v[148:149], -v[160:161]
	v_mul_f64 v[136:137], v[136:137], v[150:151]
	v_fma_f64 v[182:183], v[138:139], v[148:149], v[136:137]
	s_waitcnt lgkmcnt(9)
	v_mul_f64 v[136:137], v[142:143], v[130:131]
	v_fma_f64 v[184:185], v[140:141], v[128:129], -v[136:137]
	v_mul_f64 v[136:137], v[140:141], v[130:131]
	v_fma_f64 v[186:187], v[142:143], v[128:129], v[136:137]
	s_waitcnt lgkmcnt(8)
	;; [unrolled: 5-line block ×3, first 2 shown]
	v_mul_f64 v[136:137], v[154:155], v[114:115]
	v_fma_f64 v[192:193], v[152:153], v[112:113], -v[136:137]
	v_mul_f64 v[136:137], v[152:153], v[114:115]
	v_fma_f64 v[194:195], v[154:155], v[112:113], v[136:137]
	global_load_dwordx4 v[136:139], v[13:14], off offset:976
	global_load_dwordx4 v[140:143], v[13:14], off offset:960
	;; [unrolled: 1-line block ×4, first 2 shown]
	s_waitcnt vmcnt(0) lgkmcnt(6)
	v_mul_f64 v[152:153], v[158:159], v[162:163]
	v_fma_f64 v[196:197], v[156:157], v[160:161], -v[152:153]
	v_mul_f64 v[152:153], v[156:157], v[162:163]
	v_add_f64 v[196:197], v[40:41], -v[196:197]
	v_fma_f64 v[198:199], v[158:159], v[160:161], v[152:153]
	s_waitcnt lgkmcnt(5)
	v_mul_f64 v[152:153], v[166:167], v[146:147]
	v_fma_f64 v[40:41], v[40:41], 2.0, -v[196:197]
	v_add_f64 v[198:199], v[19:20], -v[198:199]
	v_fma_f64 v[208:209], v[164:165], v[144:145], -v[152:153]
	v_mul_f64 v[152:153], v[164:165], v[146:147]
	v_fma_f64 v[19:20], v[19:20], 2.0, -v[198:199]
	v_fma_f64 v[210:211], v[166:167], v[144:145], v[152:153]
	s_waitcnt lgkmcnt(4)
	v_mul_f64 v[152:153], v[174:175], v[142:143]
	v_fma_f64 v[212:213], v[172:173], v[140:141], -v[152:153]
	v_mul_f64 v[152:153], v[172:173], v[142:143]
	v_fma_f64 v[172:173], v[174:175], v[140:141], v[152:153]
	s_waitcnt lgkmcnt(3)
	v_mul_f64 v[152:153], v[178:179], v[138:139]
	v_add_f64 v[172:173], v[27:28], -v[172:173]
	v_fma_f64 v[174:175], v[176:177], v[136:137], -v[152:153]
	v_mul_f64 v[152:153], v[176:177], v[138:139]
	v_fma_f64 v[27:28], v[27:28], 2.0, -v[172:173]
	v_add_f64 v[174:175], v[29:30], -v[174:175]
	v_fma_f64 v[176:177], v[178:179], v[136:137], v[152:153]
	global_load_dwordx4 v[152:155], v[13:14], off offset:1024
	global_load_dwordx4 v[156:159], v[13:14], off offset:1008
	;; [unrolled: 1-line block ×3, first 2 shown]
	v_add_f64 v[178:179], v[170:171], -v[194:195]
	v_add_f64 v[194:195], v[23:24], -v[210:211]
	s_waitcnt vmcnt(0) lgkmcnt(0)
	s_barrier
	v_fma_f64 v[29:30], v[29:30], 2.0, -v[174:175]
	v_add_f64 v[176:177], v[42:43], -v[176:177]
	v_fma_f64 v[170:171], v[170:171], 2.0, -v[178:179]
	v_fma_f64 v[23:24], v[23:24], 2.0, -v[194:195]
	v_add_f64 v[174:175], v[178:179], v[174:175]
	v_fma_f64 v[42:43], v[42:43], 2.0, -v[176:177]
	v_fma_f64 v[178:179], v[178:179], 2.0, -v[174:175]
	v_add_f64 v[42:43], v[170:171], -v[42:43]
	v_fma_f64 v[170:171], v[170:171], 2.0, -v[42:43]
	v_mul_f64 v[13:14], v[10:11], v[166:167]
	v_fma_f64 v[13:14], v[8:9], v[164:165], -v[13:14]
	v_mul_f64 v[8:9], v[8:9], v[166:167]
	v_add_f64 v[13:14], v[180:181], -v[13:14]
	v_fma_f64 v[8:9], v[10:11], v[164:165], v[8:9]
	v_mul_f64 v[10:11], v[6:7], v[158:159]
	v_fma_f64 v[180:181], v[180:181], 2.0, -v[13:14]
	v_add_f64 v[8:9], v[182:183], -v[8:9]
	v_fma_f64 v[10:11], v[4:5], v[156:157], -v[10:11]
	v_mul_f64 v[4:5], v[4:5], v[158:159]
	v_add_f64 v[13:14], v[198:199], v[13:14]
	v_add_f64 v[180:181], v[40:41], -v[180:181]
	v_fma_f64 v[182:183], v[182:183], 2.0, -v[8:9]
	v_add_f64 v[10:11], v[184:185], -v[10:11]
	v_fma_f64 v[4:5], v[6:7], v[156:157], v[4:5]
	v_mul_f64 v[6:7], v[2:3], v[154:155]
	v_add_f64 v[8:9], v[196:197], -v[8:9]
	v_fma_f64 v[198:199], v[198:199], 2.0, -v[13:14]
	v_fma_f64 v[40:41], v[40:41], 2.0, -v[180:181]
	v_add_f64 v[182:183], v[19:20], -v[182:183]
	v_fma_f64 v[184:185], v[184:185], 2.0, -v[10:11]
	v_add_f64 v[4:5], v[186:187], -v[4:5]
	v_fma_f64 v[6:7], v[0:1], v[152:153], -v[6:7]
	v_mul_f64 v[0:1], v[0:1], v[154:155]
	v_add_f64 v[10:11], v[194:195], v[10:11]
	v_fma_f64 v[196:197], v[196:197], 2.0, -v[8:9]
	v_fma_f64 v[19:20], v[19:20], 2.0, -v[182:183]
	;; [unrolled: 1-line block ×3, first 2 shown]
	v_add_f64 v[6:7], v[188:189], -v[6:7]
	v_fma_f64 v[0:1], v[2:3], v[152:153], v[0:1]
	v_add_f64 v[2:3], v[168:169], -v[192:193]
	v_add_f64 v[192:193], v[21:22], -v[208:209]
	;; [unrolled: 1-line block ×3, first 2 shown]
	v_fma_f64 v[194:195], v[194:195], 2.0, -v[10:11]
	v_add_f64 v[186:187], v[23:24], -v[186:187]
	v_fma_f64 v[188:189], v[188:189], 2.0, -v[6:7]
	v_add_f64 v[0:1], v[190:191], -v[0:1]
	v_fma_f64 v[168:169], v[168:169], 2.0, -v[2:3]
	v_fma_f64 v[21:22], v[21:22], 2.0, -v[192:193]
	v_add_f64 v[176:177], v[2:3], -v[176:177]
	v_add_f64 v[4:5], v[192:193], -v[4:5]
	v_fma_f64 v[25:26], v[25:26], 2.0, -v[208:209]
	v_fma_f64 v[23:24], v[23:24], 2.0, -v[186:187]
	v_add_f64 v[6:7], v[172:173], v[6:7]
	v_fma_f64 v[190:191], v[190:191], 2.0, -v[0:1]
	v_add_f64 v[29:30], v[168:169], -v[29:30]
	v_add_f64 v[184:185], v[21:22], -v[184:185]
	v_fma_f64 v[2:3], v[2:3], 2.0, -v[176:177]
	v_fma_f64 v[192:193], v[192:193], 2.0, -v[4:5]
	v_add_f64 v[188:189], v[25:26], -v[188:189]
	v_add_f64 v[212:213], v[170:171], -v[23:24]
	;; [unrolled: 1-line block ×4, first 2 shown]
	v_fma_f64 v[168:169], v[168:169], 2.0, -v[29:30]
	v_fma_f64 v[21:22], v[21:22], 2.0, -v[184:185]
	v_fma_f64 v[172:173], v[172:173], 2.0, -v[6:7]
	v_add_f64 v[216:217], v[42:43], v[184:185]
	v_fma_f64 v[25:26], v[25:26], 2.0, -v[188:189]
	v_fma_f64 v[23:24], v[170:171], 2.0, -v[212:213]
	v_fma_f64 v[170:171], v[194:195], s[2:3], v[178:179]
	v_fma_f64 v[27:28], v[27:28], 2.0, -v[190:191]
	v_fma_f64 v[208:209], v[208:209], 2.0, -v[0:1]
	v_add_f64 v[210:211], v[168:169], -v[21:22]
	v_add_f64 v[214:215], v[29:30], -v[186:187]
	v_fma_f64 v[42:43], v[42:43], 2.0, -v[216:217]
	v_add_f64 v[184:185], v[19:20], -v[27:28]
	v_fma_f64 v[21:22], v[168:169], 2.0, -v[210:211]
	v_fma_f64 v[168:169], v[192:193], s[2:3], v[2:3]
	v_fma_f64 v[192:193], v[192:193], s[14:15], v[170:171]
	v_fma_f64 v[29:30], v[29:30], 2.0, -v[214:215]
	v_fma_f64 v[194:195], v[194:195], s[2:3], v[168:169]
	v_fma_f64 v[170:171], v[178:179], 2.0, -v[192:193]
	;; [unrolled: 2-line block ×3, first 2 shown]
	v_fma_f64 v[2:3], v[4:5], s[14:15], v[176:177]
	v_fma_f64 v[220:221], v[4:5], s[14:15], v[178:179]
	v_add_f64 v[178:179], v[40:41], -v[25:26]
	v_fma_f64 v[4:5], v[19:20], 2.0, -v[184:185]
	v_fma_f64 v[19:20], v[172:173], s[2:3], v[198:199]
	v_fma_f64 v[218:219], v[10:11], s[2:3], v[2:3]
	;; [unrolled: 1-line block ×3, first 2 shown]
	v_fma_f64 v[2:3], v[40:41], 2.0, -v[178:179]
	v_fma_f64 v[174:175], v[174:175], 2.0, -v[220:221]
	v_fma_f64 v[186:187], v[208:209], s[14:15], v[19:20]
	v_add_f64 v[178:179], v[212:213], v[178:179]
	v_fma_f64 v[176:177], v[176:177], 2.0, -v[218:219]
	v_fma_f64 v[40:41], v[172:173], s[2:3], v[10:11]
	v_fma_f64 v[172:173], v[0:1], s[14:15], v[8:9]
	v_fma_f64 v[19:20], v[198:199], 2.0, -v[186:187]
	v_add_f64 v[198:199], v[182:183], v[188:189]
	v_fma_f64 v[10:11], v[196:197], 2.0, -v[40:41]
	v_add_f64 v[196:197], v[180:181], -v[190:191]
	v_fma_f64 v[222:223], v[6:7], s[2:3], v[172:173]
	v_fma_f64 v[27:28], v[182:183], 2.0, -v[198:199]
	v_fma_f64 v[182:183], v[212:213], 2.0, -v[178:179]
	;; [unrolled: 1-line block ×3, first 2 shown]
	v_fma_f64 v[180:181], v[6:7], s[14:15], v[13:14]
	v_fma_f64 v[172:173], v[8:9], 2.0, -v[222:223]
	v_fma_f64 v[8:9], v[10:11], s[20:21], v[168:169]
	v_fma_f64 v[208:209], v[0:1], s[14:15], v[180:181]
	v_add_f64 v[0:1], v[21:22], -v[2:3]
	v_add_f64 v[2:3], v[23:24], -v[4:5]
	v_fma_f64 v[8:9], v[19:20], s[18:19], v[8:9]
	v_fma_f64 v[13:14], v[13:14], 2.0, -v[208:209]
	v_fma_f64 v[4:5], v[21:22], 2.0, -v[0:1]
	;; [unrolled: 1-line block ×3, first 2 shown]
	v_fma_f64 v[21:22], v[19:20], s[20:21], v[170:171]
	v_fma_f64 v[19:20], v[168:169], 2.0, -v[8:9]
	v_fma_f64 v[23:24], v[25:26], s[2:3], v[29:30]
	v_fma_f64 v[168:169], v[27:28], s[2:3], v[42:43]
	;; [unrolled: 1-line block ×5, first 2 shown]
	v_fma_f64 v[21:22], v[170:171], 2.0, -v[10:11]
	v_fma_f64 v[170:171], v[13:14], s[18:19], v[174:175]
	v_fma_f64 v[27:28], v[29:30], 2.0, -v[23:24]
	v_fma_f64 v[29:30], v[42:43], 2.0, -v[25:26]
	v_fma_f64 v[42:43], v[172:173], s[18:19], v[176:177]
	v_fma_f64 v[170:171], v[172:173], s[22:23], v[170:171]
	;; [unrolled: 1-line block ×5, first 2 shown]
	v_fma_f64 v[174:175], v[174:175], 2.0, -v[170:171]
	v_fma_f64 v[172:173], v[176:177], 2.0, -v[168:169]
	v_add_f64 v[176:177], v[210:211], -v[184:185]
	v_fma_f64 v[184:185], v[186:187], s[20:21], v[13:14]
	v_fma_f64 v[186:187], v[40:41], s[22:23], v[42:43]
	;; [unrolled: 1-line block ×4, first 2 shown]
	v_fma_f64 v[180:181], v[210:211], 2.0, -v[176:177]
	v_fma_f64 v[188:189], v[194:195], 2.0, -v[184:185]
	;; [unrolled: 1-line block ×3, first 2 shown]
	v_fma_f64 v[192:193], v[198:199], s[2:3], v[13:14]
	v_fma_f64 v[194:195], v[196:197], s[14:15], v[40:41]
	v_fma_f64 v[13:14], v[222:223], s[22:23], v[218:219]
	v_fma_f64 v[40:41], v[208:209], s[22:23], v[220:221]
	v_cmp_lt_u16_e64 s[2:3], 59, v35
	s_movk_i32 s15, 0x3000
	s_movk_i32 s14, 0x4000
	v_fma_f64 v[196:197], v[214:215], 2.0, -v[192:193]
	v_fma_f64 v[198:199], v[216:217], 2.0, -v[194:195]
	v_fma_f64 v[208:209], v[208:209], s[18:19], v[13:14]
	v_fma_f64 v[210:211], v[222:223], s[16:17], v[40:41]
	v_mov_b32_e32 v13, 0x3c0
	v_cndmask_b32_e64 v13, 0, v13, s[2:3]
	v_or_b32_e32 v12, v12, v13
	v_add_lshl_u32 v38, v15, v12, 4
	v_fma_f64 v[212:213], v[218:219], 2.0, -v[208:209]
	v_fma_f64 v[214:215], v[220:221], 2.0, -v[210:211]
	ds_write_b128 v38, v[4:7]
	ds_write_b128 v38, v[19:22] offset:960
	ds_write_b128 v38, v[27:30] offset:1920
	;; [unrolled: 1-line block ×15, first 2 shown]
	v_lshlrev_b32_e32 v19, 4, v35
	v_add_co_u32_e64 v32, s[2:3], s4, v19
	v_addc_co_u32_e64 v18, s[2:3], 0, v18, s[2:3]
	v_add_co_u32_e64 v40, s[2:3], s15, v32
	v_addc_co_u32_e64 v41, s[2:3], 0, v18, s[2:3]
	s_waitcnt lgkmcnt(0)
	s_barrier
	ds_read_b128 v[20:23], v52
	ds_read_b128 v[24:27], v34 offset:15360
	ds_read_b128 v[28:31], v34 offset:1920
	;; [unrolled: 1-line block ×15, first 2 shown]
	global_load_dwordx4 v[168:171], v[40:41], off offset:2912
	s_movk_i32 s4, 0x6000
	s_waitcnt vmcnt(0) lgkmcnt(14)
	v_mul_f64 v[40:41], v[26:27], v[170:171]
	v_fma_f64 v[40:41], v[24:25], v[168:169], -v[40:41]
	v_mul_f64 v[24:25], v[24:25], v[170:171]
	v_fma_f64 v[26:27], v[26:27], v[168:169], v[24:25]
	v_add_co_u32_e64 v24, s[2:3], s14, v32
	v_addc_co_u32_e64 v25, s[2:3], 0, v18, s[2:3]
	global_load_dwordx4 v[172:175], v[24:25], off offset:736
	v_add_f64 v[26:27], v[22:23], -v[26:27]
	v_fma_f64 v[22:23], v[22:23], 2.0, -v[26:27]
	s_waitcnt vmcnt(0) lgkmcnt(12)
	v_mul_f64 v[42:43], v[178:179], v[174:175]
	v_fma_f64 v[42:43], v[176:177], v[172:173], -v[42:43]
	v_mul_f64 v[176:177], v[176:177], v[174:175]
	v_fma_f64 v[220:221], v[178:179], v[172:173], v[176:177]
	global_load_dwordx4 v[176:179], v[24:25], off offset:2656
	v_add_f64 v[236:237], v[30:31], -v[220:221]
	v_fma_f64 v[30:31], v[30:31], 2.0, -v[236:237]
	s_waitcnt vmcnt(0) lgkmcnt(10)
	v_mul_f64 v[24:25], v[182:183], v[178:179]
	v_fma_f64 v[222:223], v[180:181], v[176:177], -v[24:25]
	v_mul_f64 v[24:25], v[180:181], v[178:179]
	v_add_f64 v[238:239], v[212:213], -v[222:223]
	v_fma_f64 v[224:225], v[182:183], v[176:177], v[24:25]
	v_add_co_u32_e64 v24, s[2:3], s5, v32
	v_addc_co_u32_e64 v25, s[2:3], 0, v18, s[2:3]
	global_load_dwordx4 v[180:183], v[24:25], off offset:480
	v_fma_f64 v[242:243], v[212:213], 2.0, -v[238:239]
	v_add_f64 v[240:241], v[214:215], -v[224:225]
	v_fma_f64 v[244:245], v[214:215], 2.0, -v[240:241]
	s_waitcnt vmcnt(0) lgkmcnt(8)
	v_mul_f64 v[226:227], v[186:187], v[182:183]
	v_fma_f64 v[226:227], v[184:185], v[180:181], -v[226:227]
	v_mul_f64 v[184:185], v[184:185], v[182:183]
	v_add_f64 v[246:247], v[208:209], -v[226:227]
	v_fma_f64 v[228:229], v[186:187], v[180:181], v[184:185]
	global_load_dwordx4 v[184:187], v[24:25], off offset:2400
	v_fma_f64 v[250:251], v[208:209], 2.0, -v[246:247]
	v_add_f64 v[248:249], v[210:211], -v[228:229]
	v_fma_f64 v[252:253], v[210:211], 2.0, -v[248:249]
	s_waitcnt vmcnt(0) lgkmcnt(6)
	v_mul_f64 v[24:25], v[190:191], v[186:187]
	v_fma_f64 v[230:231], v[188:189], v[184:185], -v[24:25]
	v_mul_f64 v[24:25], v[188:189], v[186:187]
	v_fma_f64 v[254:255], v[190:191], v[184:185], v[24:25]
	v_add_co_u32_e64 v24, s[2:3], s4, v32
	v_addc_co_u32_e64 v25, s[2:3], 0, v18, s[2:3]
	global_load_dwordx4 v[188:191], v[24:25], off offset:224
	s_waitcnt vmcnt(0) lgkmcnt(4)
	v_mul_f64 v[234:235], v[194:195], v[190:191]
	v_fma_f64 v[32:33], v[192:193], v[188:189], -v[234:235]
	v_mul_f64 v[192:193], v[192:193], v[190:191]
	v_add_f64 v[208:209], v[8:9], -v[32:33]
	v_fma_f64 v[232:233], v[194:195], v[188:189], v[192:193]
	global_load_dwordx4 v[192:195], v[24:25], off offset:2144
	v_fma_f64 v[224:225], v[8:9], 2.0, -v[208:209]
	v_add_f64 v[210:211], v[10:11], -v[232:233]
	v_fma_f64 v[226:227], v[10:11], 2.0, -v[210:211]
	s_waitcnt vmcnt(0) lgkmcnt(2)
	v_mul_f64 v[234:235], v[198:199], v[194:195]
	v_mul_f64 v[46:47], v[196:197], v[194:195]
	v_fma_f64 v[44:45], v[196:197], v[192:193], -v[234:235]
	v_fma_f64 v[46:47], v[198:199], v[192:193], v[46:47]
	global_load_dwordx4 v[196:199], v[24:25], off offset:4064
	v_add_f64 v[234:235], v[28:29], -v[42:43]
	v_add_f64 v[42:43], v[14:15], -v[254:255]
	;; [unrolled: 1-line block ×4, first 2 shown]
	v_fma_f64 v[28:29], v[28:29], 2.0, -v[234:235]
	v_fma_f64 v[14:15], v[14:15], 2.0, -v[42:43]
	;; [unrolled: 1-line block ×4, first 2 shown]
	s_waitcnt vmcnt(0) lgkmcnt(0)
	v_mul_f64 v[24:25], v[218:219], v[198:199]
	v_fma_f64 v[48:49], v[216:217], v[196:197], -v[24:25]
	v_mul_f64 v[24:25], v[216:217], v[198:199]
	v_add_f64 v[216:217], v[0:1], -v[48:49]
	v_fma_f64 v[50:51], v[218:219], v[196:197], v[24:25]
	v_add_f64 v[24:25], v[20:21], -v[40:41]
	v_add_f64 v[40:41], v[12:13], -v[230:231]
	v_fma_f64 v[228:229], v[0:1], 2.0, -v[216:217]
	v_add_f64 v[218:219], v[2:3], -v[50:51]
	v_fma_f64 v[20:21], v[20:21], 2.0, -v[24:25]
	v_fma_f64 v[12:13], v[12:13], 2.0, -v[40:41]
	v_add_co_u32_e64 v0, s[2:3], s12, v19
	v_mov_b32_e32 v1, s13
	v_addc_co_u32_e64 v1, s[2:3], 0, v1, s[2:3]
	v_fma_f64 v[230:231], v[2:3], 2.0, -v[218:219]
	ds_write_b128 v52, v[20:23]
	ds_write_b128 v34, v[24:27] offset:15360
	ds_write_b128 v34, v[28:31] offset:1920
	;; [unrolled: 1-line block ×15, first 2 shown]
	s_waitcnt lgkmcnt(0)
	s_barrier
	global_load_dwordx4 v[6:9], v19, s[12:13]
	ds_read_b128 v[2:5], v52
	s_movk_i32 s2, 0x2000
	s_waitcnt vmcnt(0) lgkmcnt(0)
	v_mul_f64 v[10:11], v[4:5], v[8:9]
	v_fma_f64 v[10:11], v[2:3], v[6:7], -v[10:11]
	v_mul_f64 v[2:3], v[2:3], v[8:9]
	v_fma_f64 v[12:13], v[4:5], v[6:7], v[2:3]
	global_load_dwordx4 v[6:9], v19, s[12:13] offset:3072
	ds_write_b128 v52, v[10:13]
	ds_read_b128 v[2:5], v34 offset:3072
	s_waitcnt vmcnt(0) lgkmcnt(0)
	v_mul_f64 v[10:11], v[4:5], v[8:9]
	v_fma_f64 v[10:11], v[2:3], v[6:7], -v[10:11]
	v_mul_f64 v[2:3], v[2:3], v[8:9]
	v_fma_f64 v[12:13], v[4:5], v[6:7], v[2:3]
	buffer_load_dword v6, off, s[24:27], 0 offset:192 ; 4-byte Folded Reload
	ds_read_b128 v[2:5], v34 offset:6144
	ds_write_b128 v34, v[10:13] offset:3072
	s_waitcnt vmcnt(0)
	global_load_dwordx4 v[6:9], v6, s[12:13]
	s_waitcnt vmcnt(0) lgkmcnt(1)
	v_mul_f64 v[10:11], v[4:5], v[8:9]
	v_fma_f64 v[10:11], v[2:3], v[6:7], -v[10:11]
	v_mul_f64 v[2:3], v[2:3], v[8:9]
	v_fma_f64 v[12:13], v[4:5], v[6:7], v[2:3]
	v_add_co_u32_e64 v4, s[2:3], s2, v0
	v_addc_co_u32_e64 v5, s[2:3], 0, v1, s[2:3]
	ds_read_b128 v[6:9], v34 offset:9216
	ds_write_b128 v34, v[10:13] offset:6144
	global_load_dwordx4 v[10:13], v[4:5], off offset:1024
	s_waitcnt vmcnt(0) lgkmcnt(1)
	v_mul_f64 v[2:3], v[8:9], v[12:13]
	v_fma_f64 v[18:19], v[6:7], v[10:11], -v[2:3]
	v_mul_f64 v[2:3], v[6:7], v[12:13]
	v_fma_f64 v[20:21], v[8:9], v[10:11], v[2:3]
	buffer_load_dword v2, off, s[24:27], 0 offset:196 ; 4-byte Folded Reload
	ds_read_b128 v[6:9], v34 offset:12288
	ds_write_b128 v34, v[18:21] offset:9216
	s_waitcnt vmcnt(0)
	global_load_dwordx4 v[10:13], v2, s[12:13]
	s_waitcnt vmcnt(0) lgkmcnt(1)
	v_mul_f64 v[2:3], v[8:9], v[12:13]
	v_fma_f64 v[18:19], v[6:7], v[10:11], -v[2:3]
	v_mul_f64 v[2:3], v[6:7], v[12:13]
	v_fma_f64 v[20:21], v[8:9], v[10:11], v[2:3]
	v_add_co_u32_e64 v8, s[2:3], s15, v0
	v_addc_co_u32_e64 v9, s[2:3], 0, v1, s[2:3]
	ds_read_b128 v[10:13], v34 offset:15360
	ds_write_b128 v34, v[18:21] offset:12288
	global_load_dwordx4 v[18:21], v[8:9], off offset:3072
	s_waitcnt vmcnt(0) lgkmcnt(1)
	v_mul_f64 v[2:3], v[12:13], v[20:21]
	v_fma_f64 v[22:23], v[10:11], v[18:19], -v[2:3]
	v_mul_f64 v[2:3], v[10:11], v[20:21]
	v_fma_f64 v[24:25], v[12:13], v[18:19], v[2:3]
	buffer_load_dword v2, off, s[24:27], 0 offset:200 ; 4-byte Folded Reload
	ds_read_b128 v[10:13], v34 offset:18432
	ds_write_b128 v34, v[22:25] offset:15360
	s_waitcnt vmcnt(0)
	global_load_dwordx4 v[18:21], v2, s[12:13]
	s_waitcnt vmcnt(0) lgkmcnt(1)
	v_mul_f64 v[2:3], v[12:13], v[20:21]
	v_fma_f64 v[22:23], v[10:11], v[18:19], -v[2:3]
	v_mul_f64 v[2:3], v[10:11], v[20:21]
	v_fma_f64 v[24:25], v[12:13], v[18:19], v[2:3]
	v_add_co_u32_e64 v2, s[2:3], s5, v0
	v_addc_co_u32_e64 v3, s[2:3], 0, v1, s[2:3]
	global_load_dwordx4 v[18:21], v[2:3], off offset:1024
	ds_read_b128 v[10:13], v34 offset:21504
	ds_write_b128 v34, v[22:25] offset:18432
	s_waitcnt vmcnt(0) lgkmcnt(1)
	v_mul_f64 v[6:7], v[12:13], v[20:21]
	v_fma_f64 v[22:23], v[10:11], v[18:19], -v[6:7]
	v_mul_f64 v[6:7], v[10:11], v[20:21]
	v_fma_f64 v[24:25], v[12:13], v[18:19], v[6:7]
	buffer_load_dword v6, off, s[24:27], 0 offset:188 ; 4-byte Folded Reload
	ds_read_b128 v[10:13], v34 offset:24576
	ds_write_b128 v34, v[22:25] offset:21504
	s_waitcnt vmcnt(0)
	global_load_dwordx4 v[18:21], v6, s[12:13]
	s_waitcnt vmcnt(0) lgkmcnt(1)
	v_mul_f64 v[6:7], v[12:13], v[20:21]
	v_fma_f64 v[22:23], v[10:11], v[18:19], -v[6:7]
	v_mul_f64 v[6:7], v[10:11], v[20:21]
	v_fma_f64 v[24:25], v[12:13], v[18:19], v[6:7]
	v_add_co_u32_e64 v6, s[2:3], s4, v0
	v_addc_co_u32_e64 v7, s[2:3], 0, v1, s[2:3]
	global_load_dwordx4 v[18:21], v[6:7], off offset:3072
	ds_read_b128 v[10:13], v34 offset:27648
	ds_write_b128 v34, v[22:25] offset:24576
	s_waitcnt vmcnt(0) lgkmcnt(1)
	v_mul_f64 v[14:15], v[12:13], v[20:21]
	v_fma_f64 v[22:23], v[10:11], v[18:19], -v[14:15]
	v_mul_f64 v[10:11], v[10:11], v[20:21]
	v_fma_f64 v[24:25], v[12:13], v[18:19], v[10:11]
	ds_write_b128 v34, v[22:25] offset:27648
	s_and_saveexec_b64 s[4:5], vcc
	s_cbranch_execz .LBB0_13
; %bb.12:
	global_load_dwordx4 v[18:21], v[0:1], off offset:1920
	ds_read_b128 v[10:13], v34 offset:1920
	s_movk_i32 s2, 0x1000
	s_waitcnt vmcnt(0) lgkmcnt(0)
	v_mul_f64 v[14:15], v[12:13], v[20:21]
	v_fma_f64 v[22:23], v[10:11], v[18:19], -v[14:15]
	v_mul_f64 v[10:11], v[10:11], v[20:21]
	v_add_co_u32_e64 v14, s[2:3], s2, v0
	v_addc_co_u32_e64 v15, s[2:3], 0, v1, s[2:3]
	v_fma_f64 v[24:25], v[12:13], v[18:19], v[10:11]
	global_load_dwordx4 v[18:21], v[14:15], off offset:896
	ds_read_b128 v[10:13], v34 offset:4992
	ds_write_b128 v34, v[22:25] offset:1920
	s_waitcnt vmcnt(0) lgkmcnt(1)
	v_mul_f64 v[22:23], v[12:13], v[20:21]
	v_fma_f64 v[22:23], v[10:11], v[18:19], -v[22:23]
	v_mul_f64 v[10:11], v[10:11], v[20:21]
	v_fma_f64 v[24:25], v[12:13], v[18:19], v[10:11]
	global_load_dwordx4 v[18:21], v[14:15], off offset:3968
	ds_read_b128 v[10:13], v34 offset:8064
	ds_write_b128 v34, v[22:25] offset:4992
	s_waitcnt vmcnt(0) lgkmcnt(1)
	v_mul_f64 v[14:15], v[12:13], v[20:21]
	v_fma_f64 v[22:23], v[10:11], v[18:19], -v[14:15]
	v_mul_f64 v[10:11], v[10:11], v[20:21]
	;; [unrolled: 8-line block ×4, first 2 shown]
	v_fma_f64 v[10:11], v[12:13], v[18:19], v[4:5]
	v_add_co_u32_e64 v4, s[2:3], s14, v0
	v_addc_co_u32_e64 v5, s[2:3], 0, v1, s[2:3]
	global_load_dwordx4 v[12:15], v[4:5], off offset:896
	s_movk_i32 s2, 0x7000
	v_add_co_u32_e64 v0, s[2:3], s2, v0
	ds_write_b128 v34, v[8:11] offset:14208
	ds_read_b128 v[8:11], v34 offset:17280
	v_addc_co_u32_e64 v1, s[2:3], 0, v1, s[2:3]
	s_waitcnt vmcnt(0) lgkmcnt(0)
	v_mul_f64 v[18:19], v[10:11], v[14:15]
	v_fma_f64 v[18:19], v[8:9], v[12:13], -v[18:19]
	v_mul_f64 v[8:9], v[8:9], v[14:15]
	v_fma_f64 v[20:21], v[10:11], v[12:13], v[8:9]
	global_load_dwordx4 v[12:15], v[4:5], off offset:3968
	ds_read_b128 v[8:11], v34 offset:20352
	ds_write_b128 v34, v[18:21] offset:17280
	s_waitcnt vmcnt(0) lgkmcnt(1)
	v_mul_f64 v[4:5], v[10:11], v[14:15]
	v_fma_f64 v[18:19], v[8:9], v[12:13], -v[4:5]
	v_mul_f64 v[4:5], v[8:9], v[14:15]
	v_fma_f64 v[20:21], v[10:11], v[12:13], v[4:5]
	global_load_dwordx4 v[2:5], v[2:3], off offset:2944
	ds_read_b128 v[8:11], v34 offset:23424
	ds_write_b128 v34, v[18:21] offset:20352
	s_waitcnt vmcnt(0) lgkmcnt(1)
	v_mul_f64 v[12:13], v[10:11], v[4:5]
	v_mul_f64 v[4:5], v[8:9], v[4:5]
	v_fma_f64 v[12:13], v[8:9], v[2:3], -v[12:13]
	global_load_dwordx4 v[6:9], v[6:7], off offset:1920
	v_fma_f64 v[14:15], v[10:11], v[2:3], v[4:5]
	ds_read_b128 v[2:5], v34 offset:26496
	ds_write_b128 v34, v[12:15] offset:23424
	s_waitcnt vmcnt(0) lgkmcnt(1)
	v_mul_f64 v[10:11], v[4:5], v[8:9]
	v_fma_f64 v[10:11], v[2:3], v[6:7], -v[10:11]
	v_mul_f64 v[2:3], v[2:3], v[8:9]
	v_fma_f64 v[12:13], v[4:5], v[6:7], v[2:3]
	global_load_dwordx4 v[6:9], v[0:1], off offset:896
	ds_read_b128 v[2:5], v34 offset:29568
	ds_write_b128 v34, v[10:13] offset:26496
	s_waitcnt vmcnt(0) lgkmcnt(1)
	v_mul_f64 v[0:1], v[4:5], v[8:9]
	v_fma_f64 v[0:1], v[2:3], v[6:7], -v[0:1]
	v_mul_f64 v[2:3], v[2:3], v[8:9]
	v_fma_f64 v[2:3], v[4:5], v[6:7], v[2:3]
	ds_write_b128 v34, v[0:3] offset:29568
.LBB0_13:
	s_or_b64 exec, exec, s[4:5]
	s_waitcnt lgkmcnt(0)
	s_barrier
	buffer_load_dword v0, off, s[24:27], 0  ; 4-byte Folded Reload
	s_waitcnt vmcnt(0)
	ds_read_b128 v[4:7], v0
	ds_read_b128 v[248:251], v34 offset:3072
	ds_read_b128 v[0:3], v34 offset:6144
	;; [unrolled: 1-line block ×9, first 2 shown]
	s_and_saveexec_b64 s[2:3], vcc
	s_cbranch_execz .LBB0_15
; %bb.14:
	v_lshlrev_b32_e32 v18, 4, v53
	v_lshl_add_u32 v18, v35, 4, v18
	ds_read_b128 v[208:211], v18 offset:4992
	ds_read_b128 v[220:223], v18 offset:8064
	;; [unrolled: 1-line block ×10, first 2 shown]
.LBB0_15:
	s_or_b64 exec, exec, s[2:3]
	s_waitcnt lgkmcnt(3)
	v_add_f64 v[20:21], v[8:9], v[12:13]
	s_waitcnt lgkmcnt(1)
	v_add_f64 v[24:25], v[2:3], -v[254:255]
	s_mov_b32 s12, 0x134454ff
	s_mov_b32 s13, 0xbfee6f0e
	;; [unrolled: 1-line block ×4, first 2 shown]
	v_add_f64 v[26:27], v[10:11], -v[14:15]
	v_add_f64 v[28:29], v[0:1], -v[8:9]
	v_fma_f64 v[22:23], v[20:21], -0.5, v[4:5]
	v_add_f64 v[30:31], v[252:253], -v[12:13]
	s_mov_b32 s16, 0x4755a5e
	s_mov_b32 s17, 0xbfe2cf23
	;; [unrolled: 1-line block ×6, first 2 shown]
	v_fma_f64 v[20:21], v[24:25], s[12:13], v[22:23]
	v_fma_f64 v[22:23], v[24:25], s[4:5], v[22:23]
	v_add_f64 v[28:29], v[28:29], v[30:31]
	v_add_f64 v[18:19], v[4:5], v[0:1]
	v_add_f64 v[30:31], v[8:9], -v[0:1]
	v_add_f64 v[32:33], v[12:13], -v[252:253]
	s_waitcnt lgkmcnt(0)
	v_add_f64 v[40:41], v[244:245], -v[240:241]
	v_add_f64 v[42:43], v[236:237], -v[232:233]
	v_fma_f64 v[20:21], v[26:27], s[16:17], v[20:21]
	v_fma_f64 v[22:23], v[26:27], s[2:3], v[22:23]
	v_add_f64 v[44:45], v[240:241], -v[244:245]
	v_add_f64 v[18:19], v[18:19], v[8:9]
	v_add_f64 v[8:9], v[8:9], -v[12:13]
	v_add_f64 v[30:31], v[30:31], v[32:33]
	v_add_f64 v[32:33], v[254:255], -v[14:15]
	v_add_f64 v[46:47], v[236:237], -v[240:241]
	v_fma_f64 v[20:21], v[28:29], s[14:15], v[20:21]
	v_fma_f64 v[22:23], v[28:29], s[14:15], v[22:23]
	v_add_f64 v[28:29], v[0:1], v[252:253]
	v_add_f64 v[0:1], v[0:1], -v[252:253]
	v_add_f64 v[18:19], v[18:19], v[12:13]
	v_add_f64 v[42:43], v[42:43], v[44:45]
	v_add_f64 v[48:49], v[234:235], -v[238:239]
	v_add_f64 v[50:51], v[246:247], -v[242:243]
	s_mov_b32 s18, 0x9b97f4a8
	s_mov_b32 s19, 0x3fe9e377
	v_fma_f64 v[4:5], v[28:29], -0.5, v[4:5]
	s_mov_b32 s21, 0xbfd3c6ef
	s_mov_b32 s20, s14
	;; [unrolled: 1-line block ×4, first 2 shown]
	v_add_f64 v[48:49], v[48:49], v[50:51]
	v_add_f64 v[18:19], v[18:19], v[252:253]
	v_fma_f64 v[28:29], v[26:27], s[4:5], v[4:5]
	v_fma_f64 v[4:5], v[26:27], s[12:13], v[4:5]
	s_barrier
	v_fma_f64 v[28:29], v[24:25], s[16:17], v[28:29]
	v_fma_f64 v[4:5], v[24:25], s[2:3], v[4:5]
	;; [unrolled: 1-line block ×4, first 2 shown]
	v_add_f64 v[4:5], v[6:7], v[2:3]
	v_add_f64 v[4:5], v[4:5], v[10:11]
	v_add_f64 v[4:5], v[4:5], v[14:15]
	v_add_f64 v[26:27], v[4:5], v[254:255]
	v_add_f64 v[4:5], v[10:11], v[14:15]
	v_fma_f64 v[4:5], v[4:5], -0.5, v[6:7]
	v_fma_f64 v[30:31], v[0:1], s[4:5], v[4:5]
	v_fma_f64 v[4:5], v[0:1], s[12:13], v[4:5]
	;; [unrolled: 1-line block ×3, first 2 shown]
	v_add_f64 v[30:31], v[2:3], -v[10:11]
	v_fma_f64 v[4:5], v[8:9], s[16:17], v[4:5]
	v_add_f64 v[30:31], v[30:31], v[32:33]
	v_fma_f64 v[32:33], v[30:31], s[14:15], v[12:13]
	v_fma_f64 v[30:31], v[30:31], s[14:15], v[4:5]
	v_add_f64 v[4:5], v[2:3], v[254:255]
	v_add_f64 v[2:3], v[10:11], -v[2:3]
	v_add_f64 v[10:11], v[14:15], -v[254:255]
	;; [unrolled: 1-line block ×4, first 2 shown]
	v_fma_f64 v[4:5], v[4:5], -0.5, v[6:7]
	v_add_f64 v[2:3], v[2:3], v[10:11]
	v_add_f64 v[14:15], v[14:15], v[40:41]
	v_fma_f64 v[6:7], v[8:9], s[12:13], v[4:5]
	v_fma_f64 v[4:5], v[8:9], s[4:5], v[4:5]
	v_add_f64 v[8:9], v[234:235], -v[246:247]
	v_fma_f64 v[6:7], v[0:1], s[2:3], v[6:7]
	v_fma_f64 v[0:1], v[0:1], s[16:17], v[4:5]
	v_add_f64 v[4:5], v[236:237], v[240:241]
	v_fma_f64 v[6:7], v[2:3], s[14:15], v[6:7]
	v_fma_f64 v[2:3], v[2:3], s[14:15], v[0:1]
	v_fma_f64 v[4:5], v[4:5], -0.5, v[248:249]
	v_add_f64 v[0:1], v[248:249], v[232:233]
	v_fma_f64 v[10:11], v[8:9], s[12:13], v[4:5]
	v_fma_f64 v[4:5], v[8:9], s[4:5], v[4:5]
	v_add_f64 v[0:1], v[0:1], v[236:237]
	v_fma_f64 v[10:11], v[12:13], s[16:17], v[10:11]
	v_fma_f64 v[4:5], v[12:13], s[2:3], v[4:5]
	;; [unrolled: 3-line block ×3, first 2 shown]
	v_add_f64 v[14:15], v[232:233], v[244:245]
	v_add_f64 v[0:1], v[0:1], v[244:245]
	v_fma_f64 v[14:15], v[14:15], -0.5, v[248:249]
	v_fma_f64 v[40:41], v[12:13], s[4:5], v[14:15]
	v_fma_f64 v[12:13], v[12:13], s[12:13], v[14:15]
	;; [unrolled: 1-line block ×4, first 2 shown]
	v_add_f64 v[12:13], v[250:251], v[234:235]
	v_fma_f64 v[40:41], v[42:43], s[14:15], v[40:41]
	v_fma_f64 v[8:9], v[42:43], s[14:15], v[8:9]
	v_add_f64 v[12:13], v[12:13], v[238:239]
	v_add_f64 v[42:43], v[232:233], -v[244:245]
	v_add_f64 v[232:233], v[238:239], -v[234:235]
	v_add_f64 v[12:13], v[12:13], v[242:243]
	v_add_f64 v[14:15], v[12:13], v[246:247]
	;; [unrolled: 1-line block ×3, first 2 shown]
	v_fma_f64 v[12:13], v[12:13], -0.5, v[250:251]
	v_fma_f64 v[44:45], v[42:43], s[4:5], v[12:13]
	v_fma_f64 v[12:13], v[42:43], s[12:13], v[12:13]
	;; [unrolled: 1-line block ×6, first 2 shown]
	v_add_f64 v[48:49], v[234:235], v[246:247]
	v_add_f64 v[234:235], v[242:243], -v[246:247]
	v_fma_f64 v[48:49], v[48:49], -0.5, v[250:251]
	v_add_f64 v[232:233], v[232:233], v[234:235]
	v_fma_f64 v[50:51], v[46:47], s[12:13], v[48:49]
	v_fma_f64 v[46:47], v[46:47], s[4:5], v[48:49]
	;; [unrolled: 1-line block ×4, first 2 shown]
	v_mul_f64 v[46:47], v[44:45], s[16:17]
	v_fma_f64 v[50:51], v[232:233], s[14:15], v[50:51]
	v_fma_f64 v[42:43], v[232:233], s[14:15], v[42:43]
	;; [unrolled: 1-line block ×3, first 2 shown]
	v_mul_f64 v[10:11], v[10:11], s[2:3]
	v_add_f64 v[232:233], v[18:19], v[0:1]
	v_mul_f64 v[48:49], v[50:51], s[12:13]
	v_mul_f64 v[234:235], v[42:43], s[12:13]
	;; [unrolled: 1-line block ×3, first 2 shown]
	v_fma_f64 v[10:11], v[44:45], s[18:19], v[10:11]
	v_mul_f64 v[44:45], v[50:51], s[14:15]
	v_add_f64 v[236:237], v[20:21], v[46:47]
	v_add_f64 v[50:51], v[216:217], -v[212:213]
	v_fma_f64 v[48:49], v[40:41], s[14:15], v[48:49]
	v_fma_f64 v[252:253], v[8:9], s[20:21], v[234:235]
	v_mul_f64 v[234:235], v[12:13], s[16:17]
	v_fma_f64 v[42:43], v[8:9], s[4:5], v[42:43]
	v_mul_f64 v[8:9], v[12:13], s[22:23]
	v_fma_f64 v[40:41], v[40:41], s[4:5], v[44:45]
	v_add_f64 v[12:13], v[18:19], -v[0:1]
	v_add_f64 v[238:239], v[32:33], v[10:11]
	v_add_f64 v[240:241], v[28:29], v[48:49]
	;; [unrolled: 1-line block ×3, first 2 shown]
	v_fma_f64 v[254:255], v[4:5], s[22:23], v[234:235]
	v_add_f64 v[0:1], v[24:25], -v[252:253]
	v_fma_f64 v[44:45], v[4:5], s[2:3], v[8:9]
	v_add_f64 v[8:9], v[20:21], -v[46:47]
	v_add_f64 v[20:21], v[204:205], v[228:229]
	v_add_f64 v[24:25], v[222:223], -v[110:111]
	v_add_f64 v[234:235], v[26:27], v[14:15]
	;; [unrolled: 2-line block ×4, first 2 shown]
	v_add_f64 v[14:15], v[26:27], -v[14:15]
	v_fma_f64 v[22:23], v[20:21], -0.5, v[224:225]
	v_add_f64 v[254:255], v[30:31], -v[44:45]
	v_add_f64 v[26:27], v[230:231], -v[206:207]
	;; [unrolled: 1-line block ×4, first 2 shown]
	v_add_f64 v[242:243], v[6:7], v[40:41]
	v_add_f64 v[10:11], v[32:33], -v[10:11]
	v_add_f64 v[6:7], v[6:7], -v[40:41]
	v_fma_f64 v[20:21], v[24:25], s[12:13], v[22:23]
	v_fma_f64 v[22:23], v[24:25], s[4:5], v[22:23]
	v_add_f64 v[32:33], v[228:229], -v[220:221]
	v_add_f64 v[40:41], v[204:205], -v[108:109]
	v_add_f64 v[28:29], v[30:31], v[28:29]
	v_add_f64 v[246:247], v[2:3], v[42:43]
	v_add_f64 v[2:3], v[2:3], -v[42:43]
	v_add_f64 v[18:19], v[220:221], v[224:225]
	v_fma_f64 v[20:21], v[26:27], s[16:17], v[20:21]
	v_fma_f64 v[22:23], v[26:27], s[2:3], v[22:23]
	v_add_f64 v[42:43], v[222:223], -v[230:231]
	v_add_f64 v[32:33], v[40:41], v[32:33]
	v_add_f64 v[44:45], v[110:111], -v[206:207]
	v_add_f64 v[46:47], v[206:207], -v[110:111]
	;; [unrolled: 1-line block ×3, first 2 shown]
	v_add_f64 v[18:19], v[228:229], v[18:19]
	v_fma_f64 v[20:21], v[28:29], s[14:15], v[20:21]
	v_fma_f64 v[22:23], v[28:29], s[14:15], v[22:23]
	v_add_f64 v[28:29], v[108:109], v[220:221]
	ds_write_b128 v36, v[232:235]
	ds_write_b128 v36, v[236:239] offset:16
	ds_write_b128 v36, v[240:243] offset:32
	;; [unrolled: 1-line block ×9, first 2 shown]
	v_add_f64 v[42:43], v[44:45], v[42:43]
	v_add_f64 v[44:45], v[230:231], -v[222:223]
	v_add_f64 v[18:19], v[204:205], v[18:19]
	v_fma_f64 v[28:29], v[28:29], -0.5, v[224:225]
	v_add_f64 v[44:45], v[46:47], v[44:45]
	v_add_f64 v[46:47], v[212:213], -v[216:217]
	v_add_f64 v[18:19], v[108:109], v[18:19]
	v_fma_f64 v[30:31], v[26:27], s[4:5], v[28:29]
	v_fma_f64 v[26:27], v[26:27], s[12:13], v[28:29]
	v_add_f64 v[28:29], v[220:221], -v[108:109]
	v_add_f64 v[108:109], v[200:201], -v[100:101]
	v_add_f64 v[46:47], v[48:49], v[46:47]
	v_fma_f64 v[30:31], v[24:25], s[16:17], v[30:31]
	v_fma_f64 v[24:25], v[24:25], s[2:3], v[26:27]
	v_add_f64 v[26:27], v[206:207], v[230:231]
	v_add_f64 v[50:51], v[108:109], v[50:51]
	v_add_f64 v[108:109], v[214:215], -v[218:219]
	v_fma_f64 v[40:41], v[32:33], s[14:15], v[30:31]
	v_fma_f64 v[224:225], v[32:33], s[14:15], v[24:25]
	v_fma_f64 v[26:27], v[26:27], -0.5, v[226:227]
	v_add_f64 v[32:33], v[228:229], -v[204:205]
	v_add_f64 v[24:25], v[222:223], v[226:227]
	v_fma_f64 v[30:31], v[28:29], s[4:5], v[26:27]
	v_fma_f64 v[26:27], v[28:29], s[12:13], v[26:27]
	v_add_f64 v[24:25], v[230:231], v[24:25]
	v_fma_f64 v[30:31], v[32:33], s[2:3], v[30:31]
	v_fma_f64 v[26:27], v[32:33], s[16:17], v[26:27]
	v_add_f64 v[24:25], v[206:207], v[24:25]
	v_fma_f64 v[220:221], v[42:43], s[14:15], v[30:31]
	v_add_f64 v[30:31], v[110:111], v[222:223]
	;; [unrolled: 2-line block ×3, first 2 shown]
	v_add_f64 v[110:111], v[102:103], -v[202:203]
	v_fma_f64 v[30:31], v[30:31], -0.5, v[226:227]
	v_add_f64 v[108:109], v[110:111], v[108:109]
	v_add_f64 v[110:111], v[218:219], -v[214:215]
	v_fma_f64 v[42:43], v[32:33], s[12:13], v[30:31]
	v_fma_f64 v[30:31], v[32:33], s[4:5], v[30:31]
	;; [unrolled: 1-line block ×4, first 2 shown]
	v_add_f64 v[30:31], v[214:215], -v[102:103]
	v_fma_f64 v[42:43], v[44:45], s[14:15], v[42:43]
	v_fma_f64 v[222:223], v[44:45], s[14:15], v[28:29]
	v_add_f64 v[28:29], v[212:213], v[208:209]
	v_add_f64 v[44:45], v[218:219], -v[202:203]
	v_add_f64 v[28:29], v[216:217], v[28:29]
	v_add_f64 v[28:29], v[200:201], v[28:29]
	;; [unrolled: 1-line block ×4, first 2 shown]
	v_fma_f64 v[28:29], v[28:29], -0.5, v[208:209]
	v_fma_f64 v[32:33], v[30:31], s[12:13], v[28:29]
	v_fma_f64 v[28:29], v[30:31], s[4:5], v[28:29]
	;; [unrolled: 1-line block ×6, first 2 shown]
	v_add_f64 v[28:29], v[100:101], v[212:213]
	v_fma_f64 v[28:29], v[28:29], -0.5, v[208:209]
	v_fma_f64 v[48:49], v[44:45], s[4:5], v[28:29]
	v_fma_f64 v[28:29], v[44:45], s[12:13], v[28:29]
	v_add_f64 v[44:45], v[212:213], -v[100:101]
	v_add_f64 v[100:101], v[216:217], -v[200:201]
	v_fma_f64 v[48:49], v[30:31], s[16:17], v[48:49]
	v_fma_f64 v[28:29], v[30:31], s[2:3], v[28:29]
	v_fma_f64 v[48:49], v[50:51], s[14:15], v[48:49]
	v_fma_f64 v[30:31], v[50:51], s[14:15], v[28:29]
	v_add_f64 v[28:29], v[214:215], v[210:211]
	v_add_f64 v[28:29], v[218:219], v[28:29]
	;; [unrolled: 1-line block ×5, first 2 shown]
	v_fma_f64 v[28:29], v[28:29], -0.5, v[210:211]
	v_fma_f64 v[50:51], v[44:45], s[4:5], v[28:29]
	v_fma_f64 v[28:29], v[44:45], s[12:13], v[28:29]
	;; [unrolled: 1-line block ×6, first 2 shown]
	v_add_f64 v[28:29], v[102:103], v[214:215]
	v_add_f64 v[102:103], v[202:203], -v[102:103]
	v_fma_f64 v[28:29], v[28:29], -0.5, v[210:211]
	v_add_f64 v[102:103], v[102:103], v[110:111]
	v_fma_f64 v[108:109], v[100:101], s[12:13], v[28:29]
	v_fma_f64 v[28:29], v[100:101], s[4:5], v[28:29]
	;; [unrolled: 1-line block ×6, first 2 shown]
	v_mul_f64 v[28:29], v[50:51], s[16:17]
	v_fma_f64 v[216:217], v[32:33], s[18:19], v[28:29]
	v_mul_f64 v[28:29], v[110:111], s[12:13]
	v_add_f64 v[208:209], v[20:21], -v[216:217]
	v_fma_f64 v[206:207], v[48:49], s[14:15], v[28:29]
	v_mul_f64 v[28:29], v[44:45], s[12:13]
	v_add_f64 v[100:101], v[40:41], v[206:207]
	v_fma_f64 v[218:219], v[30:31], s[20:21], v[28:29]
	v_mul_f64 v[28:29], v[204:205], s[16:17]
	v_add_f64 v[212:213], v[40:41], -v[206:207]
	v_add_f64 v[206:207], v[24:25], -v[228:229]
	v_add_f64 v[108:109], v[224:225], v[218:219]
	v_fma_f64 v[230:231], v[46:47], s[22:23], v[28:29]
	v_mul_f64 v[28:29], v[50:51], s[18:19]
	v_add_f64 v[200:201], v[22:23], v[230:231]
	v_fma_f64 v[28:29], v[32:33], s[2:3], v[28:29]
	v_mul_f64 v[32:33], v[110:111], s[14:15]
	v_add_f64 v[210:211], v[220:221], -v[28:29]
	v_fma_f64 v[48:49], v[48:49], s[4:5], v[32:33]
	v_mul_f64 v[32:33], v[44:45], s[20:21]
	v_add_f64 v[102:103], v[42:43], v[48:49]
	v_fma_f64 v[30:31], v[30:31], s[4:5], v[32:33]
	v_mul_f64 v[32:33], v[204:205], s[22:23]
	v_add_f64 v[204:205], v[18:19], -v[226:227]
	v_add_f64 v[214:215], v[42:43], -v[48:49]
	v_add_f64 v[110:111], v[222:223], v[30:31]
	v_fma_f64 v[32:33], v[46:47], s[2:3], v[32:33]
	v_add_f64 v[202:203], v[26:27], v[32:33]
	s_and_saveexec_b64 s[2:3], vcc
	s_cbranch_execz .LBB0_17
; %bb.16:
	v_add_f64 v[4:5], v[226:227], v[18:19]
	buffer_load_dword v18, off, s[24:27], 0 offset:268 ; 4-byte Folded Reload
	v_add_f64 v[6:7], v[228:229], v[24:25]
	v_add_f64 v[2:3], v[220:221], v[28:29]
	;; [unrolled: 1-line block ×3, first 2 shown]
	v_add_f64 v[10:11], v[26:27], -v[32:33]
	v_add_f64 v[14:15], v[222:223], -v[30:31]
	;; [unrolled: 1-line block ×4, first 2 shown]
	s_waitcnt vmcnt(0)
	v_add_lshl_u32 v18, v53, v18, 4
	ds_write_b128 v18, v[4:7]
	ds_write_b128 v18, v[0:3] offset:16
	ds_write_b128 v18, v[100:103] offset:32
	;; [unrolled: 1-line block ×9, first 2 shown]
.LBB0_17:
	s_or_b64 exec, exec, s[2:3]
	s_waitcnt lgkmcnt(0)
	s_barrier
	buffer_load_dword v0, off, s[24:27], 0  ; 4-byte Folded Reload
	s_waitcnt vmcnt(0)
	ds_read_b128 v[4:7], v0
	ds_read_b128 v[0:3], v34 offset:1920
	ds_read_b128 v[244:247], v34 offset:5120
	;; [unrolled: 1-line block ×11, first 2 shown]
	s_and_saveexec_b64 s[2:3], s[0:1]
	s_cbranch_execz .LBB0_19
; %bb.18:
	ds_read_b128 v[100:103], v34 offset:3840
	ds_read_b128 v[108:111], v34 offset:8960
	;; [unrolled: 1-line block ×6, first 2 shown]
.LBB0_19:
	s_or_b64 exec, exec, s[2:3]
	s_waitcnt lgkmcnt(3)
	v_mul_f64 v[40:41], v[78:79], v[234:235]
	v_mul_f64 v[42:43], v[78:79], v[232:233]
	;; [unrolled: 1-line block ×4, first 2 shown]
	s_waitcnt lgkmcnt(1)
	v_mul_f64 v[44:45], v[82:83], v[230:231]
	v_mul_f64 v[46:47], v[82:83], v[228:229]
	s_mov_b32 s2, 0xe8584caa
	s_mov_b32 s3, 0xbfebb67a
	v_fma_f64 v[40:41], v[76:77], v[232:233], v[40:41]
	v_fma_f64 v[42:43], v[76:77], v[234:235], -v[42:43]
	v_mul_f64 v[76:77], v[74:75], v[222:223]
	v_mul_f64 v[74:75], v[74:75], v[220:221]
	v_fma_f64 v[25:26], v[92:93], v[240:241], v[25:26]
	v_fma_f64 v[27:28], v[92:93], v[242:243], -v[27:28]
	s_mov_b32 s5, 0x3febb67a
	s_mov_b32 s4, s2
	v_fma_f64 v[44:45], v[80:81], v[228:229], v[44:45]
	v_fma_f64 v[46:47], v[80:81], v[230:231], -v[46:47]
	v_fma_f64 v[76:77], v[72:73], v[220:221], v[76:77]
	v_fma_f64 v[72:73], v[72:73], v[222:223], -v[74:75]
	v_mul_f64 v[74:75], v[66:67], v[218:219]
	v_mul_f64 v[66:67], v[66:67], v[216:217]
	;; [unrolled: 1-line block ×8, first 2 shown]
	v_fma_f64 v[74:75], v[64:65], v[216:217], v[74:75]
	v_fma_f64 v[64:65], v[64:65], v[218:219], -v[66:67]
	v_mul_f64 v[66:67], v[62:63], v[14:15]
	v_fma_f64 v[21:22], v[96:97], v[244:245], v[21:22]
	v_fma_f64 v[29:30], v[84:85], v[236:237], v[29:30]
	v_fma_f64 v[31:32], v[84:85], v[238:239], -v[31:32]
	v_fma_f64 v[23:24], v[96:97], v[246:247], -v[23:24]
	v_fma_f64 v[48:49], v[88:89], v[224:225], v[48:49]
	v_fma_f64 v[50:51], v[88:89], v[226:227], -v[50:51]
	v_add_u32_e32 v20, 0x1e00, v34
	v_fma_f64 v[66:67], v[60:61], v[12:13], v[66:67]
	v_mul_f64 v[12:13], v[62:63], v[12:13]
	v_add_u32_e32 v19, 0x2d00, v34
	v_add_u32_e32 v18, 0x3480, v34
	s_waitcnt lgkmcnt(0)
	s_barrier
	v_fma_f64 v[60:61], v[60:61], v[14:15], -v[12:13]
	v_mul_f64 v[12:13], v[70:71], v[10:11]
	v_fma_f64 v[62:63], v[68:69], v[8:9], v[12:13]
	v_mul_f64 v[8:9], v[70:71], v[8:9]
	v_fma_f64 v[68:69], v[68:69], v[10:11], -v[8:9]
	v_add_f64 v[8:9], v[4:5], v[25:26]
	v_add_f64 v[70:71], v[8:9], v[40:41]
	;; [unrolled: 1-line block ×3, first 2 shown]
	v_fma_f64 v[4:5], v[8:9], -0.5, v[4:5]
	v_add_f64 v[8:9], v[27:28], -v[42:43]
	v_fma_f64 v[78:79], v[8:9], s[2:3], v[4:5]
	v_fma_f64 v[80:81], v[8:9], s[4:5], v[4:5]
	v_add_f64 v[4:5], v[6:7], v[27:28]
	v_add_f64 v[82:83], v[4:5], v[42:43]
	;; [unrolled: 1-line block ×3, first 2 shown]
	v_fma_f64 v[4:5], v[4:5], -0.5, v[6:7]
	v_add_f64 v[6:7], v[25:26], -v[40:41]
	v_fma_f64 v[27:28], v[6:7], s[4:5], v[4:5]
	v_fma_f64 v[40:41], v[6:7], s[2:3], v[4:5]
	v_add_f64 v[4:5], v[21:22], v[29:30]
	v_add_f64 v[6:7], v[31:32], -v[46:47]
	v_add_f64 v[25:26], v[4:5], v[44:45]
	v_add_f64 v[4:5], v[29:30], v[44:45]
	v_fma_f64 v[4:5], v[4:5], -0.5, v[21:22]
	v_fma_f64 v[10:11], v[6:7], s[2:3], v[4:5]
	v_fma_f64 v[14:15], v[6:7], s[4:5], v[4:5]
	v_add_f64 v[4:5], v[23:24], v[31:32]
	v_add_f64 v[6:7], v[29:30], -v[44:45]
	v_add_f64 v[42:43], v[4:5], v[46:47]
	v_add_f64 v[4:5], v[31:32], v[46:47]
	v_fma_f64 v[4:5], v[4:5], -0.5, v[23:24]
	v_fma_f64 v[21:22], v[6:7], s[4:5], v[4:5]
	v_fma_f64 v[23:24], v[6:7], s[2:3], v[4:5]
	v_add_f64 v[4:5], v[70:71], v[25:26]
	v_mul_f64 v[6:7], v[21:22], s[2:3]
	v_mul_f64 v[21:22], v[21:22], 0.5
	v_fma_f64 v[29:30], v[10:11], 0.5, v[6:7]
	v_mul_f64 v[6:7], v[23:24], s[2:3]
	v_fma_f64 v[44:45], v[10:11], s[4:5], v[21:22]
	v_mul_f64 v[21:22], v[23:24], -0.5
	v_add_f64 v[23:24], v[82:83], -v[42:43]
	v_add_f64 v[8:9], v[78:79], v[29:30]
	v_fma_f64 v[31:32], v[14:15], -0.5, v[6:7]
	v_add_f64 v[10:11], v[27:28], v[44:45]
	v_fma_f64 v[46:47], v[14:15], s[4:5], v[21:22]
	v_add_f64 v[21:22], v[70:71], -v[25:26]
	v_add_f64 v[25:26], v[78:79], -v[29:30]
	v_add_f64 v[27:28], v[27:28], -v[44:45]
	v_add_f64 v[6:7], v[82:83], v[42:43]
	v_add_f64 v[12:13], v[80:81], v[31:32]
	v_add_f64 v[29:30], v[80:81], -v[31:32]
	v_add_f64 v[14:15], v[40:41], v[46:47]
	v_add_f64 v[31:32], v[40:41], -v[46:47]
	v_add_f64 v[40:41], v[0:1], v[76:77]
	v_add_f64 v[44:45], v[40:41], v[66:67]
	;; [unrolled: 1-line block ×3, first 2 shown]
	v_fma_f64 v[0:1], v[40:41], -0.5, v[0:1]
	v_add_f64 v[40:41], v[72:73], -v[60:61]
	v_fma_f64 v[46:47], v[40:41], s[2:3], v[0:1]
	v_fma_f64 v[70:71], v[40:41], s[4:5], v[0:1]
	v_add_f64 v[0:1], v[2:3], v[72:73]
	v_add_f64 v[78:79], v[0:1], v[60:61]
	;; [unrolled: 1-line block ×3, first 2 shown]
	v_fma_f64 v[0:1], v[0:1], -0.5, v[2:3]
	v_add_f64 v[2:3], v[76:77], -v[66:67]
	v_fma_f64 v[76:77], v[2:3], s[4:5], v[0:1]
	v_fma_f64 v[80:81], v[2:3], s[2:3], v[0:1]
	v_add_f64 v[0:1], v[48:49], v[74:75]
	v_add_f64 v[2:3], v[64:65], -v[68:69]
	v_add_f64 v[66:67], v[0:1], v[62:63]
	v_add_f64 v[0:1], v[74:75], v[62:63]
	v_fma_f64 v[0:1], v[0:1], -0.5, v[48:49]
	v_fma_f64 v[42:43], v[2:3], s[2:3], v[0:1]
	v_fma_f64 v[48:49], v[2:3], s[4:5], v[0:1]
	v_add_f64 v[0:1], v[50:51], v[64:65]
	v_add_f64 v[2:3], v[74:75], -v[62:63]
	v_add_f64 v[82:83], v[0:1], v[68:69]
	v_add_f64 v[0:1], v[64:65], v[68:69]
	v_add_f64 v[64:65], v[44:45], -v[66:67]
	v_fma_f64 v[0:1], v[0:1], -0.5, v[50:51]
	v_fma_f64 v[50:51], v[2:3], s[4:5], v[0:1]
	v_fma_f64 v[62:63], v[2:3], s[2:3], v[0:1]
	v_add_f64 v[0:1], v[44:45], v[66:67]
	v_add_f64 v[66:67], v[78:79], -v[82:83]
	v_mul_f64 v[2:3], v[50:51], s[2:3]
	v_mul_f64 v[50:51], v[50:51], 0.5
	v_fma_f64 v[68:69], v[42:43], 0.5, v[2:3]
	v_mul_f64 v[2:3], v[62:63], s[2:3]
	v_mul_f64 v[62:63], v[62:63], -0.5
	v_fma_f64 v[50:51], v[42:43], s[4:5], v[50:51]
	v_add_f64 v[40:41], v[46:47], v[68:69]
	v_fma_f64 v[72:73], v[48:49], -0.5, v[2:3]
	v_fma_f64 v[48:49], v[48:49], s[4:5], v[62:63]
	v_add_f64 v[2:3], v[78:79], v[82:83]
	v_add_f64 v[42:43], v[76:77], v[50:51]
	v_add_f64 v[68:69], v[46:47], -v[68:69]
	v_add_f64 v[60:61], v[70:71], v[72:73]
	v_add_f64 v[62:63], v[80:81], v[48:49]
	v_add_f64 v[72:73], v[70:71], -v[72:73]
	v_add_f64 v[70:71], v[76:77], -v[50:51]
	;; [unrolled: 1-line block ×3, first 2 shown]
	ds_write_b128 v39, v[4:7]
	ds_write_b128 v39, v[8:11] offset:160
	ds_write_b128 v39, v[12:15] offset:320
	;; [unrolled: 1-line block ×5, first 2 shown]
	ds_write_b128 v37, v[0:3]
	ds_write_b128 v37, v[40:43] offset:160
	ds_write_b128 v37, v[60:63] offset:320
	ds_write_b128 v37, v[64:67] offset:480
	ds_write_b128 v37, v[68:71] offset:640
	ds_write_b128 v37, v[72:75] offset:800
	s_and_saveexec_b64 s[12:13], s[0:1]
	s_cbranch_execz .LBB0_21
; %bb.20:
	buffer_load_dword v23, off, s[24:27], 0 offset:236 ; 4-byte Folded Reload
	buffer_load_dword v24, off, s[24:27], 0 offset:240 ; 4-byte Folded Reload
	;; [unrolled: 1-line block ×12, first 2 shown]
	v_mul_f64 v[4:5], v[58:59], v[212:213]
	v_mul_f64 v[12:13], v[58:59], v[214:215]
	v_fma_f64 v[4:5], v[56:57], v[214:215], -v[4:5]
	v_fma_f64 v[12:13], v[56:57], v[212:213], v[12:13]
	s_waitcnt vmcnt(8)
	v_mul_f64 v[0:1], v[25:26], v[200:201]
	s_waitcnt vmcnt(4)
	v_mul_f64 v[2:3], v[41:42], v[204:205]
	v_mul_f64 v[10:11], v[41:42], v[206:207]
	buffer_load_dword v41, off, s[24:27], 0 offset:252 ; 4-byte Folded Reload
	buffer_load_dword v42, off, s[24:27], 0 offset:256 ; 4-byte Folded Reload
	;; [unrolled: 1-line block ×4, first 2 shown]
	v_mul_f64 v[8:9], v[25:26], v[202:203]
	s_waitcnt vmcnt(4)
	v_mul_f64 v[6:7], v[29:30], v[208:209]
	v_mul_f64 v[21:22], v[29:30], v[210:211]
	v_fma_f64 v[0:1], v[23:24], v[202:203], -v[0:1]
	v_fma_f64 v[2:3], v[39:40], v[206:207], -v[2:3]
	v_fma_f64 v[10:11], v[39:40], v[204:205], v[10:11]
	v_fma_f64 v[8:9], v[23:24], v[200:201], v[8:9]
	v_fma_f64 v[6:7], v[27:28], v[210:211], -v[6:7]
	v_fma_f64 v[21:22], v[27:28], v[208:209], v[21:22]
	v_add_f64 v[25:26], v[2:3], v[4:5]
	v_add_f64 v[29:30], v[10:11], v[12:13]
	v_add_f64 v[31:32], v[10:11], -v[12:13]
	v_add_f64 v[39:40], v[2:3], -v[4:5]
	v_add_f64 v[27:28], v[6:7], v[0:1]
	v_add_f64 v[36:37], v[8:9], -v[21:22]
	s_waitcnt vmcnt(0)
	v_mul_f64 v[14:15], v[43:44], v[108:109]
	v_mul_f64 v[23:24], v[43:44], v[110:111]
	v_fma_f64 v[14:15], v[41:42], v[110:111], -v[14:15]
	v_fma_f64 v[23:24], v[41:42], v[108:109], v[23:24]
	v_add_f64 v[41:42], v[0:1], v[102:103]
	v_add_f64 v[0:1], v[0:1], -v[6:7]
	v_fma_f64 v[25:26], v[25:26], -0.5, v[14:15]
	v_add_f64 v[2:3], v[2:3], v[14:15]
	v_add_f64 v[14:15], v[21:22], v[8:9]
	v_fma_f64 v[29:30], v[29:30], -0.5, v[23:24]
	v_add_f64 v[10:11], v[10:11], v[23:24]
	v_fma_f64 v[23:24], v[27:28], -0.5, v[102:103]
	v_add_f64 v[8:9], v[8:9], v[100:101]
	v_add_f64 v[27:28], v[6:7], v[41:42]
	v_fma_f64 v[43:44], v[31:32], s[2:3], v[25:26]
	v_fma_f64 v[25:26], v[31:32], s[4:5], v[25:26]
	v_add_f64 v[4:5], v[4:5], v[2:3]
	v_fma_f64 v[6:7], v[39:40], s[4:5], v[29:30]
	v_fma_f64 v[29:30], v[39:40], s[2:3], v[29:30]
	v_fma_f64 v[2:3], v[14:15], -0.5, v[100:101]
	v_fma_f64 v[14:15], v[36:37], s[2:3], v[23:24]
	v_fma_f64 v[23:24], v[36:37], s[4:5], v[23:24]
	v_mul_f64 v[31:32], v[43:44], -0.5
	v_mul_f64 v[39:40], v[25:26], 0.5
	v_mul_f64 v[25:26], v[25:26], s[2:3]
	v_mul_f64 v[36:37], v[43:44], s[2:3]
	v_add_f64 v[8:9], v[21:22], v[8:9]
	v_add_f64 v[41:42], v[12:13], v[10:11]
	v_fma_f64 v[43:44], v[0:1], s[4:5], v[2:3]
	v_fma_f64 v[0:1], v[0:1], s[2:3], v[2:3]
	;; [unrolled: 1-line block ×4, first 2 shown]
	v_fma_f64 v[29:30], v[29:30], 0.5, v[25:26]
	v_fma_f64 v[36:37], v[6:7], -0.5, v[36:37]
	v_add_f64 v[10:11], v[27:28], -v[4:5]
	v_add_f64 v[27:28], v[27:28], v[4:5]
	v_add_f64 v[25:26], v[8:9], v[41:42]
	v_add_f64 v[8:9], v[8:9], -v[41:42]
	v_add_f64 v[2:3], v[14:15], -v[31:32]
	;; [unrolled: 1-line block ×3, first 2 shown]
	v_add_f64 v[23:24], v[23:24], v[39:40]
	v_add_f64 v[21:22], v[0:1], v[29:30]
	;; [unrolled: 1-line block ×4, first 2 shown]
	v_add_f64 v[4:5], v[0:1], -v[29:30]
	v_add_f64 v[0:1], v[43:44], -v[36:37]
	v_add_lshl_u32 v29, v53, v54, 4
	ds_write_b128 v29, v[25:28]
	ds_write_b128 v29, v[21:24] offset:160
	ds_write_b128 v29, v[12:15] offset:320
	;; [unrolled: 1-line block ×5, first 2 shown]
.LBB0_21:
	s_or_b64 exec, exec, s[12:13]
	s_waitcnt lgkmcnt(0)
	s_barrier
	buffer_load_dword v33, off, s[24:27], 0 ; 4-byte Folded Reload
	s_mov_b32 s0, 0x667f3bcd
	s_mov_b32 s1, 0xbfe6a09e
	s_mov_b32 s3, 0x3fe6a09e
	s_mov_b32 s2, s0
	s_mov_b32 s4, 0xcf328d46
	s_mov_b32 s12, 0xa6aea964
	s_mov_b32 s5, 0xbfed906b
	s_mov_b32 s13, 0x3fd87de2
	s_mov_b32 s15, 0xbfd87de2
	s_mov_b32 s14, s12
	s_mov_b32 s17, 0x3fed906b
	s_mov_b32 s16, s4
	s_waitcnt vmcnt(0)
	ds_read_b128 v[0:3], v33
	ds_read_b128 v[4:7], v34 offset:1920
	ds_read_b128 v[8:11], v34 offset:3840
	;; [unrolled: 1-line block ×13, first 2 shown]
	s_waitcnt lgkmcnt(12)
	v_mul_f64 v[36:37], v[134:135], v[6:7]
	v_mul_f64 v[75:76], v[134:135], v[4:5]
	s_waitcnt lgkmcnt(11)
	v_mul_f64 v[77:78], v[122:123], v[10:11]
	v_mul_f64 v[79:80], v[122:123], v[8:9]
	;; [unrolled: 3-line block ×4, first 2 shown]
	v_fma_f64 v[4:5], v[132:133], v[4:5], v[36:37]
	v_fma_f64 v[6:7], v[132:133], v[6:7], -v[75:76]
	v_fma_f64 v[8:9], v[120:121], v[8:9], v[77:78]
	v_fma_f64 v[10:11], v[120:121], v[10:11], -v[79:80]
	;; [unrolled: 2-line block ×3, first 2 shown]
	v_mul_f64 v[36:37], v[106:107], v[23:24]
	v_mul_f64 v[75:76], v[106:107], v[21:22]
	;; [unrolled: 1-line block ×6, first 2 shown]
	ds_read_b128 v[67:70], v34 offset:26880
	ds_read_b128 v[71:74], v34 offset:28800
	s_waitcnt lgkmcnt(0)
	v_fma_f64 v[21:22], v[104:105], v[21:22], v[36:37]
	v_fma_f64 v[23:24], v[104:105], v[23:24], -v[75:76]
	v_fma_f64 v[25:26], v[148:149], v[25:26], v[77:78]
	v_fma_f64 v[27:28], v[148:149], v[27:28], -v[79:80]
	;; [unrolled: 2-line block ×4, first 2 shown]
	v_mul_f64 v[41:42], v[114:115], v[45:46]
	v_mul_f64 v[75:76], v[114:115], v[43:44]
	;; [unrolled: 1-line block ×8, first 2 shown]
	v_fma_f64 v[41:42], v[112:113], v[43:44], v[41:42]
	v_fma_f64 v[43:44], v[112:113], v[45:46], -v[75:76]
	v_fma_f64 v[45:46], v[160:161], v[47:48], v[77:78]
	v_fma_f64 v[47:48], v[160:161], v[49:50], -v[79:80]
	;; [unrolled: 2-line block ×4, first 2 shown]
	v_mul_f64 v[57:58], v[138:139], v[61:62]
	v_mul_f64 v[75:76], v[138:139], v[59:60]
	;; [unrolled: 1-line block ×8, first 2 shown]
	v_fma_f64 v[57:58], v[136:137], v[59:60], v[57:58]
	v_fma_f64 v[59:60], v[136:137], v[61:62], -v[75:76]
	v_fma_f64 v[61:62], v[164:165], v[63:64], v[77:78]
	v_fma_f64 v[63:64], v[164:165], v[65:66], -v[79:80]
	;; [unrolled: 2-line block ×3, first 2 shown]
	v_add_f64 v[41:42], v[0:1], -v[41:42]
	v_add_f64 v[43:44], v[2:3], -v[43:44]
	;; [unrolled: 1-line block ×8, first 2 shown]
	v_fma_f64 v[69:70], v[152:153], v[71:72], v[85:86]
	v_fma_f64 v[71:72], v[152:153], v[73:74], -v[87:88]
	v_fma_f64 v[0:1], v[0:1], 2.0, -v[41:42]
	v_fma_f64 v[2:3], v[2:3], 2.0, -v[43:44]
	;; [unrolled: 1-line block ×8, first 2 shown]
	v_add_f64 v[45:46], v[4:5], -v[45:46]
	v_add_f64 v[47:48], v[6:7], -v[47:48]
	;; [unrolled: 1-line block ×12, first 2 shown]
	v_fma_f64 v[6:7], v[6:7], 2.0, -v[47:48]
	v_fma_f64 v[27:28], v[27:28], 2.0, -v[63:64]
	;; [unrolled: 1-line block ×4, first 2 shown]
	v_add_f64 v[59:60], v[41:42], v[59:60]
	v_add_f64 v[57:58], v[43:44], -v[57:58]
	v_add_f64 v[67:68], v[49:50], v[67:68]
	v_add_f64 v[65:66], v[51:52], -v[65:66]
	v_fma_f64 v[0:1], v[0:1], 2.0, -v[21:22]
	v_fma_f64 v[2:3], v[2:3], 2.0, -v[23:24]
	;; [unrolled: 1-line block ×4, first 2 shown]
	v_add_f64 v[63:64], v[45:46], v[63:64]
	v_add_f64 v[71:72], v[53:54], v[71:72]
	v_fma_f64 v[4:5], v[4:5], 2.0, -v[45:46]
	v_fma_f64 v[25:26], v[25:26], 2.0, -v[61:62]
	v_fma_f64 v[12:13], v[12:13], 2.0, -v[53:54]
	v_fma_f64 v[36:37], v[36:37], 2.0, -v[69:70]
	v_add_f64 v[61:62], v[47:48], -v[61:62]
	v_add_f64 v[69:70], v[55:56], -v[69:70]
	v_fma_f64 v[41:42], v[41:42], 2.0, -v[59:60]
	v_fma_f64 v[49:50], v[49:50], 2.0, -v[67:68]
	v_add_f64 v[27:28], v[6:7], -v[27:28]
	v_add_f64 v[39:40], v[14:15], -v[39:40]
	v_fma_f64 v[45:46], v[45:46], 2.0, -v[63:64]
	v_fma_f64 v[53:54], v[53:54], 2.0, -v[71:72]
	v_add_f64 v[77:78], v[0:1], -v[8:9]
	v_add_f64 v[79:80], v[2:3], -v[10:11]
	v_fma_f64 v[10:11], v[65:66], s[2:3], v[57:58]
	v_fma_f64 v[8:9], v[67:68], s[2:3], v[59:60]
	v_fma_f64 v[43:44], v[43:44], 2.0, -v[57:58]
	v_fma_f64 v[51:52], v[51:52], 2.0, -v[65:66]
	v_add_f64 v[25:26], v[4:5], -v[25:26]
	v_add_f64 v[36:37], v[12:13], -v[36:37]
	v_fma_f64 v[47:48], v[47:48], 2.0, -v[61:62]
	v_fma_f64 v[55:56], v[55:56], 2.0, -v[69:70]
	;; [unrolled: 1-line block ×4, first 2 shown]
	v_fma_f64 v[73:74], v[49:50], s[0:1], v[41:42]
	v_add_f64 v[83:84], v[23:24], -v[29:30]
	v_fma_f64 v[29:30], v[0:1], 2.0, -v[77:78]
	v_fma_f64 v[87:88], v[67:68], s[0:1], v[10:11]
	v_fma_f64 v[0:1], v[53:54], s[0:1], v[45:46]
	;; [unrolled: 1-line block ×5, first 2 shown]
	v_fma_f64 v[4:5], v[4:5], 2.0, -v[25:26]
	v_fma_f64 v[12:13], v[12:13], 2.0, -v[36:37]
	v_fma_f64 v[75:76], v[51:52], s[0:1], v[43:44]
	v_add_f64 v[81:82], v[21:22], v[31:32]
	v_fma_f64 v[31:32], v[2:3], 2.0, -v[79:80]
	v_fma_f64 v[2:3], v[55:56], s[0:1], v[47:48]
	v_add_f64 v[89:90], v[25:26], v[39:40]
	v_fma_f64 v[73:74], v[51:52], s[2:3], v[73:74]
	v_add_f64 v[67:68], v[6:7], -v[14:15]
	v_fma_f64 v[55:56], v[55:56], s[2:3], v[0:1]
	v_add_f64 v[36:37], v[27:28], -v[36:37]
	v_fma_f64 v[71:72], v[71:72], s[0:1], v[10:11]
	v_fma_f64 v[69:70], v[69:70], s[2:3], v[8:9]
	;; [unrolled: 1-line block ×3, first 2 shown]
	v_add_f64 v[65:66], v[4:5], -v[12:13]
	v_fma_f64 v[53:54], v[53:54], s[0:1], v[2:3]
	v_fma_f64 v[49:50], v[21:22], 2.0, -v[81:82]
	v_fma_f64 v[10:11], v[25:26], 2.0, -v[89:90]
	;; [unrolled: 1-line block ×14, first 2 shown]
	v_fma_f64 v[25:26], v[10:11], s[0:1], v[49:50]
	v_fma_f64 v[21:22], v[6:7], s[4:5], v[41:42]
	;; [unrolled: 1-line block ×5, first 2 shown]
	v_add_f64 v[2:3], v[31:32], -v[2:3]
	v_add_f64 v[0:1], v[29:30], -v[0:1]
	v_fma_f64 v[23:24], v[4:5], s[4:5], v[43:44]
	v_fma_f64 v[8:9], v[8:9], s[2:3], v[25:26]
	;; [unrolled: 1-line block ×7, first 2 shown]
	v_fma_f64 v[21:22], v[29:30], 2.0, -v[0:1]
	v_fma_f64 v[6:7], v[6:7], s[14:15], v[23:24]
	v_fma_f64 v[29:30], v[49:50], 2.0, -v[8:9]
	v_fma_f64 v[49:50], v[53:54], s[12:13], v[75:76]
	v_fma_f64 v[23:24], v[31:32], 2.0, -v[2:3]
	v_fma_f64 v[25:26], v[41:42], 2.0, -v[4:5]
	;; [unrolled: 1-line block ×4, first 2 shown]
	v_fma_f64 v[51:52], v[89:90], s[2:3], v[81:82]
	v_fma_f64 v[57:58], v[36:37], s[2:3], v[83:84]
	v_fma_f64 v[39:40], v[59:60], 2.0, -v[12:13]
	v_fma_f64 v[59:60], v[69:70], s[16:17], v[85:86]
	v_fma_f64 v[61:62], v[71:72], s[16:17], v[87:88]
	v_fma_f64 v[27:28], v[43:44], 2.0, -v[6:7]
	v_add_f64 v[43:44], v[77:78], v[67:68]
	v_add_f64 v[45:46], v[79:80], -v[65:66]
	v_fma_f64 v[47:48], v[53:54], s[16:17], v[47:48]
	v_fma_f64 v[49:50], v[55:56], s[4:5], v[49:50]
	;; [unrolled: 1-line block ×6, first 2 shown]
	v_fma_f64 v[59:60], v[77:78], 2.0, -v[43:44]
	v_fma_f64 v[61:62], v[79:80], 2.0, -v[45:46]
	;; [unrolled: 1-line block ×8, first 2 shown]
	s_barrier
	ds_write_b128 v38, v[21:24]
	ds_write_b128 v38, v[25:28] offset:960
	ds_write_b128 v38, v[29:32] offset:1920
	;; [unrolled: 1-line block ×15, first 2 shown]
	s_waitcnt lgkmcnt(0)
	s_barrier
	ds_read_b128 v[0:3], v33
	ds_read_b128 v[4:7], v34 offset:1920
	ds_read_b128 v[8:11], v34 offset:15360
	;; [unrolled: 1-line block ×15, first 2 shown]
	s_waitcnt lgkmcnt(13)
	v_mul_f64 v[72:73], v[170:171], v[10:11]
	v_mul_f64 v[74:75], v[170:171], v[8:9]
	s_waitcnt lgkmcnt(12)
	v_mul_f64 v[76:77], v[174:175], v[14:15]
	v_mul_f64 v[78:79], v[174:175], v[12:13]
	;; [unrolled: 3-line block ×4, first 2 shown]
	v_fma_f64 v[8:9], v[168:169], v[8:9], v[72:73]
	v_fma_f64 v[10:11], v[168:169], v[10:11], -v[74:75]
	v_fma_f64 v[12:13], v[172:173], v[12:13], v[76:77]
	v_fma_f64 v[14:15], v[172:173], v[14:15], -v[78:79]
	v_fma_f64 v[29:30], v[176:177], v[29:30], v[80:81]
	v_fma_f64 v[31:32], v[176:177], v[31:32], -v[82:83]
	v_fma_f64 v[36:37], v[180:181], v[36:37], v[84:85]
	v_fma_f64 v[38:39], v[180:181], v[38:39], -v[86:87]
	s_waitcnt lgkmcnt(5)
	v_mul_f64 v[72:73], v[186:187], v[50:51]
	v_mul_f64 v[74:75], v[186:187], v[48:49]
	s_waitcnt lgkmcnt(4)
	v_mul_f64 v[76:77], v[190:191], v[54:55]
	v_mul_f64 v[78:79], v[190:191], v[52:53]
	;; [unrolled: 3-line block ×4, first 2 shown]
	v_fma_f64 v[48:49], v[184:185], v[48:49], v[72:73]
	v_fma_f64 v[50:51], v[184:185], v[50:51], -v[74:75]
	v_fma_f64 v[52:53], v[188:189], v[52:53], v[76:77]
	v_fma_f64 v[54:55], v[188:189], v[54:55], -v[78:79]
	v_fma_f64 v[64:65], v[192:193], v[64:65], v[80:81]
	v_fma_f64 v[66:67], v[192:193], v[66:67], -v[82:83]
	v_fma_f64 v[68:69], v[196:197], v[68:69], v[84:85]
	v_fma_f64 v[70:71], v[196:197], v[70:71], -v[86:87]
	v_add_f64 v[8:9], v[0:1], -v[8:9]
	v_add_f64 v[10:11], v[2:3], -v[10:11]
	;; [unrolled: 1-line block ×8, first 2 shown]
	v_fma_f64 v[0:1], v[0:1], 2.0, -v[8:9]
	v_fma_f64 v[2:3], v[2:3], 2.0, -v[10:11]
	v_add_f64 v[48:49], v[40:41], -v[48:49]
	v_add_f64 v[50:51], v[42:43], -v[50:51]
	v_add_f64 v[52:53], v[44:45], -v[52:53]
	v_add_f64 v[54:55], v[46:47], -v[54:55]
	v_add_f64 v[64:65], v[56:57], -v[64:65]
	v_add_f64 v[66:67], v[58:59], -v[66:67]
	v_add_f64 v[68:69], v[60:61], -v[68:69]
	v_add_f64 v[70:71], v[62:63], -v[70:71]
	v_fma_f64 v[4:5], v[4:5], 2.0, -v[12:13]
	v_fma_f64 v[6:7], v[6:7], 2.0, -v[14:15]
	v_fma_f64 v[21:22], v[21:22], 2.0, -v[29:30]
	v_fma_f64 v[23:24], v[23:24], 2.0, -v[31:32]
	v_fma_f64 v[25:26], v[25:26], 2.0, -v[36:37]
	v_fma_f64 v[27:28], v[27:28], 2.0, -v[38:39]
	v_fma_f64 v[40:41], v[40:41], 2.0, -v[48:49]
	v_fma_f64 v[42:43], v[42:43], 2.0, -v[50:51]
	v_fma_f64 v[44:45], v[44:45], 2.0, -v[52:53]
	v_fma_f64 v[46:47], v[46:47], 2.0, -v[54:55]
	v_fma_f64 v[56:57], v[56:57], 2.0, -v[64:65]
	v_fma_f64 v[58:59], v[58:59], 2.0, -v[66:67]
	v_fma_f64 v[60:61], v[60:61], 2.0, -v[68:69]
	v_fma_f64 v[62:63], v[62:63], 2.0, -v[70:71]
	ds_write_b128 v33, v[0:3]
	ds_write_b128 v34, v[8:11] offset:15360
	ds_write_b128 v34, v[4:7] offset:1920
	;; [unrolled: 1-line block ×15, first 2 shown]
	s_waitcnt lgkmcnt(0)
	s_barrier
	ds_read_b128 v[0:3], v33
	buffer_load_dword v4, off, s[24:27], 0 offset:4 ; 4-byte Folded Reload
	buffer_load_dword v5, off, s[24:27], 0 offset:8 ; 4-byte Folded Reload
	v_mad_u64_u32 v[18:19], s[0:1], s8, v35, 0
	s_mov_b32 s2, 0x11111111
	s_mov_b32 s3, 0x3f411111
	s_waitcnt vmcnt(1)
	v_mov_b32_e32 v14, v4
	s_waitcnt vmcnt(0)
	ds_read_b128 v[4:7], v34 offset:3072
	buffer_load_dword v20, off, s[24:27], 0 offset:172 ; 4-byte Folded Reload
	buffer_load_dword v21, off, s[24:27], 0 offset:176 ; 4-byte Folded Reload
	;; [unrolled: 1-line block ×4, first 2 shown]
	v_mad_u64_u32 v[8:9], s[0:1], s10, v14, 0
	s_waitcnt vmcnt(0) lgkmcnt(1)
	v_mul_f64 v[10:11], v[22:23], v[2:3]
	v_mul_f64 v[12:13], v[22:23], v[0:1]
	v_fma_f64 v[0:1], v[20:21], v[0:1], v[10:11]
	v_fma_f64 v[2:3], v[20:21], v[2:3], -v[12:13]
	buffer_load_dword v20, off, s[24:27], 0 offset:108 ; 4-byte Folded Reload
	buffer_load_dword v21, off, s[24:27], 0 offset:112 ; 4-byte Folded Reload
	;; [unrolled: 1-line block ×4, first 2 shown]
	v_mad_u64_u32 v[14:15], s[0:1], s11, v14, v[9:10]
	v_mov_b32_e32 v10, v19
	v_mad_u64_u32 v[10:11], s[0:1], s9, v35, v[10:11]
	v_mov_b32_e32 v9, v14
	v_mul_f64 v[0:1], v[0:1], s[2:3]
	v_mov_b32_e32 v19, v10
	v_mul_f64 v[2:3], v[2:3], s[2:3]
	v_lshlrev_b64 v[8:9], 4, v[8:9]
	v_mov_b32_e32 v14, s7
	v_add_co_u32_e64 v26, s[0:1], s6, v8
	v_addc_co_u32_e64 v27, s[0:1], v14, v9, s[0:1]
	v_lshlrev_b64 v[8:9], 4, v[18:19]
	s_mul_hi_u32 s6, s8, 0x1800
	s_mul_i32 s7, s8, 0x1800
	s_waitcnt vmcnt(0) lgkmcnt(0)
	v_mul_f64 v[10:11], v[22:23], v[6:7]
	v_mul_f64 v[12:13], v[22:23], v[4:5]
	v_fma_f64 v[4:5], v[20:21], v[4:5], v[10:11]
	v_fma_f64 v[6:7], v[20:21], v[6:7], -v[12:13]
	v_add_co_u32_e64 v12, s[0:1], v26, v8
	v_addc_co_u32_e64 v13, s[0:1], v27, v9, s[0:1]
	global_store_dwordx4 v[12:13], v[0:3], off
	ds_read_b128 v[8:11], v34 offset:9216
	v_mul_f64 v[0:1], v[4:5], s[2:3]
	v_mul_f64 v[2:3], v[6:7], s[2:3]
	ds_read_b128 v[4:7], v34 offset:6144
	buffer_load_dword v28, off, s[24:27], 0 offset:28 ; 4-byte Folded Reload
	buffer_load_dword v29, off, s[24:27], 0 offset:32 ; 4-byte Folded Reload
	;; [unrolled: 1-line block ×5, first 2 shown]
	s_mul_i32 s0, s9, 0xc0
	s_mul_hi_u32 s1, s8, 0xc0
	s_add_i32 s1, s1, s0
	s_mul_i32 s0, s8, 0xc0
	s_lshl_b64 s[4:5], s[0:1], 4
	v_mov_b32_e32 v22, s5
	s_waitcnt vmcnt(1) lgkmcnt(0)
	v_mul_f64 v[14:15], v[30:31], v[6:7]
	v_mul_f64 v[18:19], v[30:31], v[4:5]
	s_waitcnt vmcnt(0)
	v_mad_u64_u32 v[20:21], s[0:1], s8, v24, 0
	v_add_co_u32_e64 v12, s[0:1], s4, v12
	v_addc_co_u32_e64 v13, s[0:1], v13, v22, s[0:1]
	v_fma_f64 v[4:5], v[28:29], v[4:5], v[14:15]
	v_fma_f64 v[6:7], v[28:29], v[6:7], -v[18:19]
	buffer_load_dword v28, off, s[24:27], 0 offset:124 ; 4-byte Folded Reload
	buffer_load_dword v29, off, s[24:27], 0 offset:128 ; 4-byte Folded Reload
	;; [unrolled: 1-line block ×4, first 2 shown]
	v_mov_b32_e32 v14, v21
	v_mad_u64_u32 v[14:15], s[0:1], s9, v24, v[14:15]
	global_store_dwordx4 v[12:13], v[0:3], off
	v_mov_b32_e32 v21, v14
	v_mul_f64 v[0:1], v[4:5], s[2:3]
	v_mul_f64 v[2:3], v[6:7], s[2:3]
	s_waitcnt vmcnt(1)
	v_mul_f64 v[18:19], v[30:31], v[10:11]
	v_mul_f64 v[22:23], v[30:31], v[8:9]
	v_fma_f64 v[4:5], v[28:29], v[8:9], v[18:19]
	v_fma_f64 v[6:7], v[28:29], v[10:11], -v[22:23]
	v_lshlrev_b64 v[8:9], 4, v[20:21]
	v_add_co_u32_e64 v8, s[0:1], v26, v8
	v_addc_co_u32_e64 v9, s[0:1], v27, v9, s[0:1]
	global_store_dwordx4 v[8:9], v[0:3], off
	ds_read_b128 v[8:11], v34 offset:15360
	v_mul_f64 v[0:1], v[4:5], s[2:3]
	v_mul_f64 v[2:3], v[6:7], s[2:3]
	ds_read_b128 v[4:7], v34 offset:12288
	buffer_load_dword v28, off, s[24:27], 0 offset:44 ; 4-byte Folded Reload
	buffer_load_dword v29, off, s[24:27], 0 offset:48 ; 4-byte Folded Reload
	;; [unrolled: 1-line block ×5, first 2 shown]
	s_mul_i32 s0, s9, 0x1800
	s_add_i32 s6, s6, s0
	v_mov_b32_e32 v22, s6
	s_waitcnt vmcnt(1) lgkmcnt(0)
	v_mul_f64 v[14:15], v[30:31], v[6:7]
	v_mul_f64 v[18:19], v[30:31], v[4:5]
	s_waitcnt vmcnt(0)
	v_mad_u64_u32 v[20:21], s[0:1], s8, v24, 0
	v_add_co_u32_e64 v12, s[0:1], s7, v12
	v_addc_co_u32_e64 v13, s[0:1], v13, v22, s[0:1]
	v_fma_f64 v[4:5], v[28:29], v[4:5], v[14:15]
	v_fma_f64 v[6:7], v[28:29], v[6:7], -v[18:19]
	buffer_load_dword v28, off, s[24:27], 0 offset:140 ; 4-byte Folded Reload
	buffer_load_dword v29, off, s[24:27], 0 offset:144 ; 4-byte Folded Reload
	buffer_load_dword v30, off, s[24:27], 0 offset:148 ; 4-byte Folded Reload
	buffer_load_dword v31, off, s[24:27], 0 offset:152 ; 4-byte Folded Reload
	v_mov_b32_e32 v14, v21
	v_mad_u64_u32 v[14:15], s[0:1], s9, v24, v[14:15]
	global_store_dwordx4 v[12:13], v[0:3], off
	v_mov_b32_e32 v21, v14
	v_mul_f64 v[0:1], v[4:5], s[2:3]
	v_mul_f64 v[2:3], v[6:7], s[2:3]
	v_lshlrev_b64 v[4:5], 4, v[20:21]
	v_add_co_u32_e64 v4, s[0:1], v26, v4
	v_addc_co_u32_e64 v5, s[0:1], v27, v5, s[0:1]
	global_store_dwordx4 v[4:5], v[0:3], off
	ds_read_b128 v[0:3], v34 offset:18432
	s_waitcnt vmcnt(2)
	v_mul_f64 v[18:19], v[30:31], v[10:11]
	v_mul_f64 v[22:23], v[30:31], v[8:9]
	v_fma_f64 v[6:7], v[28:29], v[8:9], v[18:19]
	v_fma_f64 v[8:9], v[28:29], v[10:11], -v[22:23]
	v_mov_b32_e32 v22, s6
	v_mul_f64 v[4:5], v[6:7], s[2:3]
	v_mul_f64 v[6:7], v[8:9], s[2:3]
	ds_read_b128 v[8:11], v34 offset:21504
	buffer_load_dword v28, off, s[24:27], 0 offset:76 ; 4-byte Folded Reload
	buffer_load_dword v29, off, s[24:27], 0 offset:80 ; 4-byte Folded Reload
	buffer_load_dword v30, off, s[24:27], 0 offset:84 ; 4-byte Folded Reload
	buffer_load_dword v31, off, s[24:27], 0 offset:88 ; 4-byte Folded Reload
	buffer_load_dword v24, off, s[24:27], 0 offset:20 ; 4-byte Folded Reload
	s_waitcnt vmcnt(1) lgkmcnt(1)
	v_mul_f64 v[14:15], v[30:31], v[2:3]
	v_mul_f64 v[18:19], v[30:31], v[0:1]
	s_waitcnt vmcnt(0)
	v_mad_u64_u32 v[20:21], s[0:1], s8, v24, 0
	v_add_co_u32_e64 v12, s[0:1], s7, v12
	v_addc_co_u32_e64 v13, s[0:1], v13, v22, s[0:1]
	v_fma_f64 v[0:1], v[28:29], v[0:1], v[14:15]
	v_fma_f64 v[2:3], v[28:29], v[2:3], -v[18:19]
	buffer_load_dword v28, off, s[24:27], 0 offset:156 ; 4-byte Folded Reload
	buffer_load_dword v29, off, s[24:27], 0 offset:160 ; 4-byte Folded Reload
	;; [unrolled: 1-line block ×4, first 2 shown]
	v_mov_b32_e32 v14, v21
	v_mad_u64_u32 v[14:15], s[0:1], s9, v24, v[14:15]
	global_store_dwordx4 v[12:13], v[4:7], off
	v_mul_f64 v[0:1], v[0:1], s[2:3]
	v_mul_f64 v[2:3], v[2:3], s[2:3]
	v_mov_b32_e32 v21, v14
	v_lshlrev_b64 v[4:5], 4, v[20:21]
	v_add_co_u32_e64 v4, s[0:1], v26, v4
	v_addc_co_u32_e64 v5, s[0:1], v27, v5, s[0:1]
	global_store_dwordx4 v[4:5], v[0:3], off
	ds_read_b128 v[0:3], v34 offset:24576
	s_waitcnt vmcnt(2) lgkmcnt(1)
	v_mul_f64 v[18:19], v[30:31], v[10:11]
	v_mul_f64 v[22:23], v[30:31], v[8:9]
	v_fma_f64 v[6:7], v[28:29], v[8:9], v[18:19]
	v_fma_f64 v[8:9], v[28:29], v[10:11], -v[22:23]
	v_mov_b32_e32 v28, s6
	v_mul_f64 v[4:5], v[6:7], s[2:3]
	v_mul_f64 v[6:7], v[8:9], s[2:3]
	ds_read_b128 v[8:11], v34 offset:27648
	buffer_load_dword v30, off, s[24:27], 0 offset:60 ; 4-byte Folded Reload
	buffer_load_dword v31, off, s[24:27], 0 offset:64 ; 4-byte Folded Reload
	;; [unrolled: 1-line block ×9, first 2 shown]
	s_waitcnt vmcnt(5) lgkmcnt(1)
	v_mul_f64 v[14:15], v[32:33], v[2:3]
	v_mul_f64 v[18:19], v[32:33], v[0:1]
	s_waitcnt vmcnt(0) lgkmcnt(0)
	v_mul_f64 v[22:23], v[37:38], v[10:11]
	v_mul_f64 v[24:25], v[37:38], v[8:9]
	v_mad_u64_u32 v[20:21], s[0:1], s8, v29, 0
	v_add_co_u32_e64 v12, s[0:1], s7, v12
	v_fma_f64 v[0:1], v[30:31], v[0:1], v[14:15]
	v_fma_f64 v[2:3], v[30:31], v[2:3], -v[18:19]
	v_fma_f64 v[8:9], v[35:36], v[8:9], v[22:23]
	v_fma_f64 v[10:11], v[35:36], v[10:11], -v[24:25]
	v_mov_b32_e32 v14, v21
	v_addc_co_u32_e64 v13, s[0:1], v13, v28, s[0:1]
	v_mad_u64_u32 v[14:15], s[0:1], s9, v29, v[14:15]
	v_mul_f64 v[0:1], v[0:1], s[2:3]
	v_mul_f64 v[2:3], v[2:3], s[2:3]
	global_store_dwordx4 v[12:13], v[4:7], off
	v_mov_b32_e32 v21, v14
	v_mul_f64 v[4:5], v[8:9], s[2:3]
	v_mul_f64 v[6:7], v[10:11], s[2:3]
	v_lshlrev_b64 v[14:15], 4, v[20:21]
	v_add_co_u32_e64 v8, s[0:1], v26, v14
	v_addc_co_u32_e64 v9, s[0:1], v27, v15, s[0:1]
	global_store_dwordx4 v[8:9], v[0:3], off
	s_nop 0
	v_mov_b32_e32 v1, s6
	v_add_co_u32_e64 v0, s[0:1], s7, v12
	v_addc_co_u32_e64 v1, s[0:1], v13, v1, s[0:1]
	global_store_dwordx4 v[0:1], v[4:7], off
	s_and_b64 exec, exec, vcc
	s_cbranch_execz .LBB0_23
; %bb.22:
	global_load_dwordx4 v[2:5], v[16:17], off offset:1920
	ds_read_b128 v[6:9], v34 offset:1920
	ds_read_b128 v[10:13], v34 offset:4992
	s_mul_i32 s6, s9, 0xffff9b80
	s_movk_i32 s7, 0x1000
	v_mov_b32_e32 v18, s5
	s_waitcnt vmcnt(0) lgkmcnt(1)
	v_mul_f64 v[14:15], v[8:9], v[4:5]
	v_mul_f64 v[4:5], v[6:7], v[4:5]
	v_fma_f64 v[6:7], v[6:7], v[2:3], v[14:15]
	v_fma_f64 v[4:5], v[2:3], v[8:9], -v[4:5]
	v_mov_b32_e32 v8, 0xffff9b80
	v_mul_f64 v[2:3], v[6:7], s[2:3]
	v_mul_f64 v[4:5], v[4:5], s[2:3]
	v_mad_u64_u32 v[6:7], s[0:1], s8, v8, v[0:1]
	s_sub_i32 s0, s6, s8
	v_add_co_u32_e32 v8, vcc, s7, v16
	v_add_u32_e32 v7, s0, v7
	v_addc_co_u32_e32 v9, vcc, 0, v17, vcc
	global_store_dwordx4 v[6:7], v[2:5], off
	global_load_dwordx4 v[0:3], v[8:9], off offset:896
	s_movk_i32 s0, 0x2000
	s_waitcnt vmcnt(0) lgkmcnt(0)
	v_mul_f64 v[4:5], v[12:13], v[2:3]
	v_mul_f64 v[2:3], v[10:11], v[2:3]
	v_fma_f64 v[4:5], v[10:11], v[0:1], v[4:5]
	v_fma_f64 v[2:3], v[0:1], v[12:13], -v[2:3]
	v_add_co_u32_e32 v12, vcc, s4, v6
	v_addc_co_u32_e32 v13, vcc, v7, v18, vcc
	v_mul_f64 v[0:1], v[4:5], s[2:3]
	v_mul_f64 v[2:3], v[2:3], s[2:3]
	global_store_dwordx4 v[12:13], v[0:3], off
	global_load_dwordx4 v[0:3], v[8:9], off offset:3968
	ds_read_b128 v[4:7], v34 offset:8064
	ds_read_b128 v[8:11], v34 offset:11136
	s_waitcnt vmcnt(0) lgkmcnt(1)
	v_mul_f64 v[14:15], v[6:7], v[2:3]
	v_mul_f64 v[2:3], v[4:5], v[2:3]
	v_fma_f64 v[4:5], v[4:5], v[0:1], v[14:15]
	v_fma_f64 v[2:3], v[0:1], v[6:7], -v[2:3]
	v_mul_f64 v[0:1], v[4:5], s[2:3]
	v_mul_f64 v[2:3], v[2:3], s[2:3]
	v_add_co_u32_e32 v4, vcc, s0, v16
	v_addc_co_u32_e32 v5, vcc, 0, v17, vcc
	v_add_co_u32_e32 v6, vcc, s4, v12
	v_addc_co_u32_e32 v7, vcc, v13, v18, vcc
	global_store_dwordx4 v[6:7], v[0:3], off
	global_load_dwordx4 v[0:3], v[4:5], off offset:2944
	s_movk_i32 s0, 0x3000
	s_waitcnt vmcnt(0) lgkmcnt(0)
	v_mul_f64 v[4:5], v[10:11], v[2:3]
	v_mul_f64 v[2:3], v[8:9], v[2:3]
	v_fma_f64 v[4:5], v[8:9], v[0:1], v[4:5]
	v_fma_f64 v[2:3], v[0:1], v[10:11], -v[2:3]
	v_mul_f64 v[0:1], v[4:5], s[2:3]
	v_mul_f64 v[2:3], v[2:3], s[2:3]
	v_add_co_u32_e32 v4, vcc, s0, v16
	v_addc_co_u32_e32 v5, vcc, 0, v17, vcc
	v_add_co_u32_e32 v12, vcc, s4, v6
	v_addc_co_u32_e32 v13, vcc, v7, v18, vcc
	global_store_dwordx4 v[12:13], v[0:3], off
	global_load_dwordx4 v[0:3], v[4:5], off offset:1920
	ds_read_b128 v[4:7], v34 offset:14208
	ds_read_b128 v[8:11], v34 offset:17280
	s_movk_i32 s0, 0x4000
	s_waitcnt vmcnt(0) lgkmcnt(1)
	v_mul_f64 v[14:15], v[6:7], v[2:3]
	v_mul_f64 v[2:3], v[4:5], v[2:3]
	v_fma_f64 v[4:5], v[4:5], v[0:1], v[14:15]
	v_fma_f64 v[2:3], v[0:1], v[6:7], -v[2:3]
	v_mul_f64 v[0:1], v[4:5], s[2:3]
	v_mul_f64 v[2:3], v[2:3], s[2:3]
	v_add_co_u32_e32 v4, vcc, s0, v16
	v_addc_co_u32_e32 v5, vcc, 0, v17, vcc
	v_add_co_u32_e32 v6, vcc, s4, v12
	v_addc_co_u32_e32 v7, vcc, v13, v18, vcc
	global_store_dwordx4 v[6:7], v[0:3], off
	global_load_dwordx4 v[0:3], v[4:5], off offset:896
	s_movk_i32 s0, 0x5000
	s_waitcnt vmcnt(0) lgkmcnt(0)
	v_mul_f64 v[12:13], v[10:11], v[2:3]
	v_mul_f64 v[2:3], v[8:9], v[2:3]
	v_fma_f64 v[8:9], v[8:9], v[0:1], v[12:13]
	v_fma_f64 v[2:3], v[0:1], v[10:11], -v[2:3]
	v_add_co_u32_e32 v12, vcc, s4, v6
	v_addc_co_u32_e32 v13, vcc, v7, v18, vcc
	v_mul_f64 v[0:1], v[8:9], s[2:3]
	v_mul_f64 v[2:3], v[2:3], s[2:3]
	global_store_dwordx4 v[12:13], v[0:3], off
	global_load_dwordx4 v[0:3], v[4:5], off offset:3968
	ds_read_b128 v[4:7], v34 offset:20352
	ds_read_b128 v[8:11], v34 offset:23424
	s_waitcnt vmcnt(0) lgkmcnt(1)
	v_mul_f64 v[14:15], v[6:7], v[2:3]
	v_mul_f64 v[2:3], v[4:5], v[2:3]
	v_fma_f64 v[4:5], v[4:5], v[0:1], v[14:15]
	v_fma_f64 v[2:3], v[0:1], v[6:7], -v[2:3]
	v_mul_f64 v[0:1], v[4:5], s[2:3]
	v_mul_f64 v[2:3], v[2:3], s[2:3]
	v_add_co_u32_e32 v4, vcc, s0, v16
	v_addc_co_u32_e32 v5, vcc, 0, v17, vcc
	v_add_co_u32_e32 v6, vcc, s4, v12
	v_addc_co_u32_e32 v7, vcc, v13, v18, vcc
	global_store_dwordx4 v[6:7], v[0:3], off
	global_load_dwordx4 v[0:3], v[4:5], off offset:2944
	s_movk_i32 s0, 0x6000
	s_waitcnt vmcnt(0) lgkmcnt(0)
	v_mul_f64 v[4:5], v[10:11], v[2:3]
	v_mul_f64 v[2:3], v[8:9], v[2:3]
	v_fma_f64 v[4:5], v[8:9], v[0:1], v[4:5]
	v_fma_f64 v[2:3], v[0:1], v[10:11], -v[2:3]
	v_mul_f64 v[0:1], v[4:5], s[2:3]
	v_mul_f64 v[2:3], v[2:3], s[2:3]
	v_add_co_u32_e32 v4, vcc, s0, v16
	v_addc_co_u32_e32 v5, vcc, 0, v17, vcc
	v_add_co_u32_e32 v12, vcc, s4, v6
	v_addc_co_u32_e32 v13, vcc, v7, v18, vcc
	global_store_dwordx4 v[12:13], v[0:3], off
	global_load_dwordx4 v[0:3], v[4:5], off offset:1920
	ds_read_b128 v[4:7], v34 offset:26496
	ds_read_b128 v[8:11], v34 offset:29568
	s_movk_i32 s0, 0x7000
	s_waitcnt vmcnt(0) lgkmcnt(1)
	v_mul_f64 v[14:15], v[6:7], v[2:3]
	v_mul_f64 v[2:3], v[4:5], v[2:3]
	v_fma_f64 v[4:5], v[4:5], v[0:1], v[14:15]
	v_fma_f64 v[2:3], v[0:1], v[6:7], -v[2:3]
	v_mul_f64 v[0:1], v[4:5], s[2:3]
	v_mul_f64 v[2:3], v[2:3], s[2:3]
	v_add_co_u32_e32 v4, vcc, s0, v16
	v_addc_co_u32_e32 v5, vcc, 0, v17, vcc
	v_add_co_u32_e32 v6, vcc, s4, v12
	v_addc_co_u32_e32 v7, vcc, v13, v18, vcc
	global_store_dwordx4 v[6:7], v[0:3], off
	global_load_dwordx4 v[0:3], v[4:5], off offset:896
	s_waitcnt vmcnt(0) lgkmcnt(0)
	v_mul_f64 v[4:5], v[10:11], v[2:3]
	v_mul_f64 v[2:3], v[8:9], v[2:3]
	v_fma_f64 v[4:5], v[8:9], v[0:1], v[4:5]
	v_fma_f64 v[2:3], v[0:1], v[10:11], -v[2:3]
	v_mul_f64 v[0:1], v[4:5], s[2:3]
	v_mul_f64 v[2:3], v[2:3], s[2:3]
	v_add_co_u32_e32 v4, vcc, s4, v6
	v_addc_co_u32_e32 v5, vcc, v7, v18, vcc
	global_store_dwordx4 v[4:5], v[0:3], off
.LBB0_23:
	s_endpgm
	.section	.rodata,"a",@progbits
	.p2align	6, 0x0
	.amdhsa_kernel bluestein_single_back_len1920_dim1_dp_op_CI_CI
		.amdhsa_group_segment_fixed_size 61440
		.amdhsa_private_segment_fixed_size 276
		.amdhsa_kernarg_size 104
		.amdhsa_user_sgpr_count 6
		.amdhsa_user_sgpr_private_segment_buffer 1
		.amdhsa_user_sgpr_dispatch_ptr 0
		.amdhsa_user_sgpr_queue_ptr 0
		.amdhsa_user_sgpr_kernarg_segment_ptr 1
		.amdhsa_user_sgpr_dispatch_id 0
		.amdhsa_user_sgpr_flat_scratch_init 0
		.amdhsa_user_sgpr_private_segment_size 0
		.amdhsa_uses_dynamic_stack 0
		.amdhsa_system_sgpr_private_segment_wavefront_offset 1
		.amdhsa_system_sgpr_workgroup_id_x 1
		.amdhsa_system_sgpr_workgroup_id_y 0
		.amdhsa_system_sgpr_workgroup_id_z 0
		.amdhsa_system_sgpr_workgroup_info 0
		.amdhsa_system_vgpr_workitem_id 0
		.amdhsa_next_free_vgpr 256
		.amdhsa_next_free_sgpr 28
		.amdhsa_reserve_vcc 1
		.amdhsa_reserve_flat_scratch 0
		.amdhsa_float_round_mode_32 0
		.amdhsa_float_round_mode_16_64 0
		.amdhsa_float_denorm_mode_32 3
		.amdhsa_float_denorm_mode_16_64 3
		.amdhsa_dx10_clamp 1
		.amdhsa_ieee_mode 1
		.amdhsa_fp16_overflow 0
		.amdhsa_exception_fp_ieee_invalid_op 0
		.amdhsa_exception_fp_denorm_src 0
		.amdhsa_exception_fp_ieee_div_zero 0
		.amdhsa_exception_fp_ieee_overflow 0
		.amdhsa_exception_fp_ieee_underflow 0
		.amdhsa_exception_fp_ieee_inexact 0
		.amdhsa_exception_int_div_zero 0
	.end_amdhsa_kernel
	.text
.Lfunc_end0:
	.size	bluestein_single_back_len1920_dim1_dp_op_CI_CI, .Lfunc_end0-bluestein_single_back_len1920_dim1_dp_op_CI_CI
                                        ; -- End function
	.section	.AMDGPU.csdata,"",@progbits
; Kernel info:
; codeLenInByte = 23052
; NumSgprs: 32
; NumVgprs: 256
; ScratchSize: 276
; MemoryBound: 0
; FloatMode: 240
; IeeeMode: 1
; LDSByteSize: 61440 bytes/workgroup (compile time only)
; SGPRBlocks: 3
; VGPRBlocks: 63
; NumSGPRsForWavesPerEU: 32
; NumVGPRsForWavesPerEU: 256
; Occupancy: 1
; WaveLimiterHint : 1
; COMPUTE_PGM_RSRC2:SCRATCH_EN: 1
; COMPUTE_PGM_RSRC2:USER_SGPR: 6
; COMPUTE_PGM_RSRC2:TRAP_HANDLER: 0
; COMPUTE_PGM_RSRC2:TGID_X_EN: 1
; COMPUTE_PGM_RSRC2:TGID_Y_EN: 0
; COMPUTE_PGM_RSRC2:TGID_Z_EN: 0
; COMPUTE_PGM_RSRC2:TIDIG_COMP_CNT: 0
	.type	__hip_cuid_19b30d6f4316c0a4,@object ; @__hip_cuid_19b30d6f4316c0a4
	.section	.bss,"aw",@nobits
	.globl	__hip_cuid_19b30d6f4316c0a4
__hip_cuid_19b30d6f4316c0a4:
	.byte	0                               ; 0x0
	.size	__hip_cuid_19b30d6f4316c0a4, 1

	.ident	"AMD clang version 19.0.0git (https://github.com/RadeonOpenCompute/llvm-project roc-6.4.0 25133 c7fe45cf4b819c5991fe208aaa96edf142730f1d)"
	.section	".note.GNU-stack","",@progbits
	.addrsig
	.addrsig_sym __hip_cuid_19b30d6f4316c0a4
	.amdgpu_metadata
---
amdhsa.kernels:
  - .args:
      - .actual_access:  read_only
        .address_space:  global
        .offset:         0
        .size:           8
        .value_kind:     global_buffer
      - .actual_access:  read_only
        .address_space:  global
        .offset:         8
        .size:           8
        .value_kind:     global_buffer
      - .actual_access:  read_only
        .address_space:  global
        .offset:         16
        .size:           8
        .value_kind:     global_buffer
      - .actual_access:  read_only
        .address_space:  global
        .offset:         24
        .size:           8
        .value_kind:     global_buffer
      - .actual_access:  read_only
        .address_space:  global
        .offset:         32
        .size:           8
        .value_kind:     global_buffer
      - .offset:         40
        .size:           8
        .value_kind:     by_value
      - .address_space:  global
        .offset:         48
        .size:           8
        .value_kind:     global_buffer
      - .address_space:  global
        .offset:         56
        .size:           8
        .value_kind:     global_buffer
      - .address_space:  global
        .offset:         64
        .size:           8
        .value_kind:     global_buffer
      - .address_space:  global
        .offset:         72
        .size:           8
        .value_kind:     global_buffer
      - .offset:         80
        .size:           4
        .value_kind:     by_value
      - .address_space:  global
        .offset:         88
        .size:           8
        .value_kind:     global_buffer
      - .address_space:  global
        .offset:         96
        .size:           8
        .value_kind:     global_buffer
    .group_segment_fixed_size: 61440
    .kernarg_segment_align: 8
    .kernarg_segment_size: 104
    .language:       OpenCL C
    .language_version:
      - 2
      - 0
    .max_flat_workgroup_size: 240
    .name:           bluestein_single_back_len1920_dim1_dp_op_CI_CI
    .private_segment_fixed_size: 276
    .sgpr_count:     32
    .sgpr_spill_count: 0
    .symbol:         bluestein_single_back_len1920_dim1_dp_op_CI_CI.kd
    .uniform_work_group_size: 1
    .uses_dynamic_stack: false
    .vgpr_count:     256
    .vgpr_spill_count: 68
    .wavefront_size: 64
amdhsa.target:   amdgcn-amd-amdhsa--gfx906
amdhsa.version:
  - 1
  - 2
...

	.end_amdgpu_metadata
